;; amdgpu-corpus repo=ROCm/rocFFT kind=compiled arch=gfx90a opt=O3
	.text
	.amdgcn_target "amdgcn-amd-amdhsa--gfx90a"
	.amdhsa_code_object_version 6
	.protected	bluestein_single_back_len3240_dim1_dp_op_CI_CI ; -- Begin function bluestein_single_back_len3240_dim1_dp_op_CI_CI
	.globl	bluestein_single_back_len3240_dim1_dp_op_CI_CI
	.p2align	8
	.type	bluestein_single_back_len3240_dim1_dp_op_CI_CI,@function
bluestein_single_back_len3240_dim1_dp_op_CI_CI: ; @bluestein_single_back_len3240_dim1_dp_op_CI_CI
; %bb.0:
	s_load_dwordx4 s[12:15], s[4:5], 0x28
	s_mov_b64 s[38:39], s[2:3]
	s_mov_b64 s[36:37], s[0:1]
	v_mul_u32_u24_e32 v1, 0x25f, v0
	s_add_u32 s36, s36, s7
	v_add_u32_sdwa v2, s6, v1 dst_sel:DWORD dst_unused:UNUSED_PAD src0_sel:DWORD src1_sel:WORD_1
	v_mov_b32_e32 v3, 0
	s_addc_u32 s37, s37, 0
	s_waitcnt lgkmcnt(0)
	v_cmp_gt_u64_e32 vcc, s[12:13], v[2:3]
	s_and_saveexec_b64 s[0:1], vcc
	s_cbranch_execz .LBB0_2
; %bb.1:
	s_movk_i32 s16, 0x6c
	s_load_dwordx4 s[8:11], s[4:5], 0x0
	s_load_dwordx4 s[20:23], s[4:5], 0x18
	s_load_dwordx2 s[12:13], s[4:5], 0x38
	v_mul_lo_u16_sdwa v1, v1, s16 dst_sel:DWORD dst_unused:UNUSED_PAD src0_sel:WORD_1 src1_sel:DWORD
	v_sub_u16_e32 v193, v0, v1
	v_lshlrev_b32_e32 v197, 4, v193
	s_waitcnt lgkmcnt(0)
	global_load_dwordx4 v[10:13], v197, s[8:9]
	s_load_dwordx4 s[0:3], s[22:23], 0x0
	s_movk_i32 s27, 0x4000
	v_mov_b32_e32 v196, 0x4380
	s_mov_b32 s26, 0x8000
	v_mov_b32_e32 v18, 0xffff7fc0
	s_waitcnt lgkmcnt(0)
	v_mad_u64_u32 v[4:5], s[4:5], s2, v2, 0
	s_load_dwordx4 s[4:7], s[20:21], 0x0
	v_mov_b32_e32 v0, v5
	v_mad_u64_u32 v[0:1], s[2:3], s3, v2, v[0:1]
	v_mov_b32_e32 v5, v0
	v_accvgpr_write_b32 a189, v5
	s_waitcnt lgkmcnt(0)
	v_mad_u64_u32 v[0:1], s[2:3], s6, v2, 0
	v_accvgpr_write_b32 a188, v4
	v_mov_b32_e32 v4, v1
	v_mad_u64_u32 v[2:3], s[2:3], s7, v2, v[4:5]
	v_mov_b32_e32 v1, v2
	v_mad_u64_u32 v[2:3], s[2:3], s4, v193, 0
	;; [unrolled: 2-line block ×3, first 2 shown]
	v_lshlrev_b64 v[0:1], 4, v[0:1]
	v_mov_b32_e32 v3, v4
	v_add_co_u32_e32 v4, vcc, s14, v0
	v_mov_b32_e32 v0, s15
	v_addc_co_u32_e32 v5, vcc, v0, v1, vcc
	v_lshlrev_b64 v[0:1], 4, v[2:3]
	v_add_co_u32_e32 v8, vcc, v4, v0
	v_addc_co_u32_e32 v9, vcc, v5, v1, vcc
	global_load_dwordx4 v[0:3], v[8:9], off
	v_add_co_u32_e32 v166, vcc, s8, v197
	v_mov_b32_e32 v4, s9
	v_addc_co_u32_e32 v167, vcc, 0, v4, vcc
	v_mad_u64_u32 v[8:9], s[2:3], s4, v196, v[8:9]
	s_mul_i32 s2, s5, 0x4380
	v_add_u32_e32 v9, s2, v9
	s_mul_i32 s3, s5, 0xffff7fc0
	s_sub_i32 s3, s3, s4
	s_movk_i32 s5, 0xd8
	s_mov_b32 s28, 0xa000
	s_movk_i32 s31, 0x21c
	s_movk_i32 s30, 0x2000
	;; [unrolled: 1-line block ×3, first 2 shown]
                                        ; kill: killed $sgpr8_sgpr9
	s_mov_b32 s19, 0xbfee6f0e
	s_mov_b32 s14, 0x372fe950
	;; [unrolled: 1-line block ×10, first 2 shown]
	s_movk_i32 s33, 0xb7
	v_accvgpr_write_b32 a222, v193
	s_waitcnt vmcnt(1)
	buffer_store_dword v10, off, s[36:39], 0 offset:76 ; 4-byte Folded Spill
	s_nop 0
	buffer_store_dword v11, off, s[36:39], 0 offset:80 ; 4-byte Folded Spill
	s_waitcnt vmcnt(2)
	v_mul_f64 v[4:5], v[2:3], v[12:13]
	v_fmac_f64_e32 v[4:5], v[0:1], v[10:11]
	v_mul_f64 v[0:1], v[0:1], v[12:13]
	v_accvgpr_write_b32 a54, v13            ;  Reload Reuse
	v_fma_f64 v[6:7], v[2:3], v[10:11], -v[0:1]
	v_add_co_u32_e32 v10, vcc, s27, v166
	v_addc_co_u32_e32 v11, vcc, 0, v167, vcc
	v_accvgpr_write_b32 a55, v12            ;  Reload Reuse
	global_load_dwordx4 v[12:15], v[10:11], off offset:896
	global_load_dwordx4 v[0:3], v[8:9], off
	ds_write_b128 v197, v[4:7]
                                        ; kill: killed $vgpr10 killed $vgpr11
	s_waitcnt vmcnt(1)
	buffer_store_dword v12, off, s[36:39], 0 offset:92 ; 4-byte Folded Spill
	s_nop 0
	buffer_store_dword v13, off, s[36:39], 0 offset:96 ; 4-byte Folded Spill
	buffer_store_dword v14, off, s[36:39], 0 offset:100 ; 4-byte Folded Spill
	;; [unrolled: 1-line block ×3, first 2 shown]
	s_waitcnt vmcnt(4)
	v_mul_f64 v[4:5], v[2:3], v[14:15]
	v_fmac_f64_e32 v[4:5], v[0:1], v[12:13]
	v_mul_f64 v[0:1], v[0:1], v[14:15]
	v_fma_f64 v[6:7], v[2:3], v[12:13], -v[0:1]
	ds_write_b128 v197, v[4:7] offset:17280
	v_add_co_u32_e32 v4, vcc, s26, v166
	v_addc_co_u32_e32 v5, vcc, 0, v167, vcc
	global_load_dwordx4 v[14:17], v[4:5], off offset:1792
	v_mad_u64_u32 v[12:13], s[6:7], s4, v196, v[8:9]
	v_add_u32_e32 v13, s2, v13
	global_load_dwordx4 v[0:3], v[12:13], off
	v_add_co_u32_e32 v170, vcc, s16, v193
	v_add_co_u32_e32 v171, vcc, s5, v193
	s_movk_i32 s5, 0x5000
	s_waitcnt vmcnt(1)
	buffer_store_dword v14, off, s[36:39], 0 offset:108 ; 4-byte Folded Spill
	s_nop 0
	buffer_store_dword v15, off, s[36:39], 0 offset:112 ; 4-byte Folded Spill
	buffer_store_dword v16, off, s[36:39], 0 offset:116 ; 4-byte Folded Spill
	;; [unrolled: 1-line block ×3, first 2 shown]
	s_waitcnt vmcnt(4)
	v_mul_f64 v[6:7], v[2:3], v[16:17]
	v_fmac_f64_e32 v[6:7], v[0:1], v[14:15]
	v_mul_f64 v[0:1], v[0:1], v[16:17]
	v_fma_f64 v[8:9], v[2:3], v[14:15], -v[0:1]
	v_mov_b32_e32 v0, 0xffff7fc0
	v_mad_u64_u32 v[12:13], s[6:7], s4, v0, v[12:13]
	ds_write_b128 v197, v[6:9] offset:34560
	v_add_u32_e32 v13, s3, v13
	global_load_dwordx4 v[0:3], v[12:13], off
	global_load_dwordx4 v[14:17], v197, s[8:9] offset:1728
	v_mad_u64_u32 v[12:13], s[6:7], s4, v196, v[12:13]
	v_add_u32_e32 v13, s2, v13
	s_waitcnt vmcnt(0)
	buffer_store_dword v14, off, s[36:39], 0 offset:124 ; 4-byte Folded Spill
	s_nop 0
	buffer_store_dword v15, off, s[36:39], 0 offset:128 ; 4-byte Folded Spill
	buffer_store_dword v16, off, s[36:39], 0 offset:132 ; 4-byte Folded Spill
	;; [unrolled: 1-line block ×3, first 2 shown]
	v_mul_f64 v[6:7], v[2:3], v[16:17]
	v_fmac_f64_e32 v[6:7], v[0:1], v[14:15]
	v_mul_f64 v[0:1], v[0:1], v[16:17]
	v_fma_f64 v[8:9], v[2:3], v[14:15], -v[0:1]
	ds_write_b128 v197, v[6:9] offset:1728
	global_load_dwordx4 v[0:3], v[12:13], off
	global_load_dwordx4 v[14:17], v[10:11], off offset:2624
	v_mad_u64_u32 v[10:11], s[6:7], s4, v196, v[12:13]
	v_add_u32_e32 v11, s2, v11
	s_waitcnt vmcnt(0)
	buffer_store_dword v14, off, s[36:39], 0 offset:140 ; 4-byte Folded Spill
	s_nop 0
	buffer_store_dword v15, off, s[36:39], 0 offset:144 ; 4-byte Folded Spill
	buffer_store_dword v16, off, s[36:39], 0 offset:148 ; 4-byte Folded Spill
	;; [unrolled: 1-line block ×3, first 2 shown]
	v_mul_f64 v[6:7], v[2:3], v[16:17]
	v_fmac_f64_e32 v[6:7], v[0:1], v[14:15]
	v_mul_f64 v[0:1], v[0:1], v[16:17]
	v_fma_f64 v[8:9], v[2:3], v[14:15], -v[0:1]
	ds_write_b128 v197, v[6:9] offset:19008
	global_load_dwordx4 v[0:3], v[10:11], off
	global_load_dwordx4 v[12:15], v[4:5], off offset:3520
	v_mad_u64_u32 v[10:11], s[6:7], s4, v18, v[10:11]
	v_add_u32_e32 v11, s3, v11
	s_waitcnt vmcnt(0)
	buffer_store_dword v12, off, s[36:39], 0 offset:156 ; 4-byte Folded Spill
	s_nop 0
	buffer_store_dword v13, off, s[36:39], 0 offset:160 ; 4-byte Folded Spill
	buffer_store_dword v14, off, s[36:39], 0 offset:164 ; 4-byte Folded Spill
	;; [unrolled: 1-line block ×3, first 2 shown]
	v_mul_f64 v[6:7], v[2:3], v[14:15]
	v_fmac_f64_e32 v[6:7], v[0:1], v[12:13]
	v_mul_f64 v[0:1], v[0:1], v[14:15]
	v_fma_f64 v[8:9], v[2:3], v[12:13], -v[0:1]
	ds_write_b128 v197, v[6:9] offset:36288
	global_load_dwordx4 v[0:3], v[10:11], off
	global_load_dwordx4 v[12:15], v197, s[8:9] offset:3456
	s_movk_i32 s8, 0x90
	s_waitcnt vmcnt(0)
	buffer_store_dword v12, off, s[36:39], 0 offset:172 ; 4-byte Folded Spill
	s_nop 0
	buffer_store_dword v13, off, s[36:39], 0 offset:176 ; 4-byte Folded Spill
	buffer_store_dword v14, off, s[36:39], 0 offset:180 ; 4-byte Folded Spill
	;; [unrolled: 1-line block ×3, first 2 shown]
	v_mul_f64 v[6:7], v[2:3], v[14:15]
	v_fmac_f64_e32 v[6:7], v[0:1], v[12:13]
	v_mul_f64 v[0:1], v[0:1], v[14:15]
	v_fma_f64 v[8:9], v[2:3], v[12:13], -v[0:1]
	v_add_co_u32_e32 v0, vcc, s5, v166
	v_addc_co_u32_e32 v1, vcc, 0, v167, vcc
	global_load_dwordx4 v[12:15], v[0:1], off offset:256
	v_mad_u64_u32 v[2:3], s[6:7], s4, v196, v[10:11]
	v_add_u32_e32 v3, s2, v3
	ds_write_b128 v197, v[6:9] offset:3456
	global_load_dwordx4 v[6:9], v[2:3], off
	s_mov_b32 s5, 0x9000
	v_mad_u64_u32 v[2:3], s[6:7], s4, v196, v[2:3]
	v_add_u32_e32 v3, s2, v3
                                        ; kill: killed $vgpr0 killed $vgpr1
	s_waitcnt vmcnt(1)
	buffer_store_dword v12, off, s[36:39], 0 offset:188 ; 4-byte Folded Spill
	s_nop 0
	buffer_store_dword v13, off, s[36:39], 0 offset:192 ; 4-byte Folded Spill
	buffer_store_dword v14, off, s[36:39], 0 offset:196 ; 4-byte Folded Spill
	;; [unrolled: 1-line block ×3, first 2 shown]
	s_waitcnt vmcnt(4)
	v_mul_f64 v[10:11], v[8:9], v[14:15]
	v_fmac_f64_e32 v[10:11], v[6:7], v[12:13]
	v_mul_f64 v[6:7], v[6:7], v[14:15]
	v_add_co_u32_e32 v14, vcc, s5, v166
	v_addc_co_u32_e32 v15, vcc, 0, v167, vcc
	global_load_dwordx4 v[20:23], v[14:15], off offset:1152
	v_fma_f64 v[12:13], v[8:9], v[12:13], -v[6:7]
	global_load_dwordx4 v[6:9], v[2:3], off
	ds_write_b128 v197, v[10:13] offset:20736
	s_movk_i32 s5, 0x144
	v_add_co_u32_e32 v172, vcc, s5, v193
	s_movk_i32 s5, 0x1000
	v_add_co_u32_e32 v16, vcc, s5, v166
	v_addc_co_u32_e32 v17, vcc, 0, v167, vcc
	v_mad_u64_u32 v[2:3], s[6:7], s4, v18, v[2:3]
	v_add_u32_e32 v3, s3, v3
                                        ; kill: killed $vgpr14 killed $vgpr15
	s_movk_i32 s5, 0x1b0
	v_add_co_u32_e32 v173, vcc, s5, v193
                                        ; kill: killed $vgpr16 killed $vgpr17
	s_movk_i32 s5, 0x288
	s_waitcnt vmcnt(1)
	buffer_store_dword v20, off, s[36:39], 0 offset:220 ; 4-byte Folded Spill
	s_nop 0
	buffer_store_dword v21, off, s[36:39], 0 offset:224 ; 4-byte Folded Spill
	buffer_store_dword v22, off, s[36:39], 0 offset:228 ; 4-byte Folded Spill
	;; [unrolled: 1-line block ×3, first 2 shown]
	s_waitcnt vmcnt(4)
	v_mul_f64 v[10:11], v[8:9], v[22:23]
	v_fmac_f64_e32 v[10:11], v[6:7], v[20:21]
	v_mul_f64 v[6:7], v[6:7], v[22:23]
	v_fma_f64 v[12:13], v[8:9], v[20:21], -v[6:7]
	global_load_dwordx4 v[20:23], v[16:17], off offset:1088
	global_load_dwordx4 v[6:9], v[2:3], off
	ds_write_b128 v197, v[10:13] offset:38016
	v_mad_u64_u32 v[2:3], s[6:7], s4, v196, v[2:3]
	v_add_u32_e32 v3, s2, v3
	s_waitcnt vmcnt(1)
	buffer_store_dword v20, off, s[36:39], 0 offset:236 ; 4-byte Folded Spill
	s_nop 0
	buffer_store_dword v21, off, s[36:39], 0 offset:240 ; 4-byte Folded Spill
	buffer_store_dword v22, off, s[36:39], 0 offset:244 ; 4-byte Folded Spill
	;; [unrolled: 1-line block ×3, first 2 shown]
	s_waitcnt vmcnt(4)
	v_mul_f64 v[10:11], v[8:9], v[22:23]
	v_fmac_f64_e32 v[10:11], v[6:7], v[20:21]
	v_mul_f64 v[6:7], v[6:7], v[22:23]
	v_fma_f64 v[12:13], v[8:9], v[20:21], -v[6:7]
	ds_write_b128 v197, v[10:13] offset:5184
	global_load_dwordx4 v[6:9], v[2:3], off
	global_load_dwordx4 v[20:23], v[0:1], off offset:1984
	v_mad_u64_u32 v[2:3], s[6:7], s4, v196, v[2:3]
	v_add_u32_e32 v3, s2, v3
	s_waitcnt vmcnt(0)
	buffer_store_dword v20, off, s[36:39], 0 offset:252 ; 4-byte Folded Spill
	s_nop 0
	buffer_store_dword v21, off, s[36:39], 0 offset:256 ; 4-byte Folded Spill
	buffer_store_dword v22, off, s[36:39], 0 offset:260 ; 4-byte Folded Spill
	buffer_store_dword v23, off, s[36:39], 0 offset:264 ; 4-byte Folded Spill
	v_mul_f64 v[10:11], v[8:9], v[22:23]
	v_fmac_f64_e32 v[10:11], v[6:7], v[20:21]
	v_mul_f64 v[6:7], v[6:7], v[22:23]
	v_fma_f64 v[12:13], v[8:9], v[20:21], -v[6:7]
	ds_write_b128 v197, v[10:13] offset:22464
	global_load_dwordx4 v[6:9], v[2:3], off
	global_load_dwordx4 v[20:23], v[14:15], off offset:2880
	v_mad_u64_u32 v[2:3], s[6:7], s4, v18, v[2:3]
	v_add_u32_e32 v3, s3, v3
	s_waitcnt vmcnt(0)
	buffer_store_dword v20, off, s[36:39], 0 offset:268 ; 4-byte Folded Spill
	s_nop 0
	buffer_store_dword v21, off, s[36:39], 0 offset:272 ; 4-byte Folded Spill
	buffer_store_dword v22, off, s[36:39], 0 offset:276 ; 4-byte Folded Spill
	;; [unrolled: 1-line block ×3, first 2 shown]
	v_mul_f64 v[10:11], v[8:9], v[22:23]
	v_fmac_f64_e32 v[10:11], v[6:7], v[20:21]
	v_mul_f64 v[6:7], v[6:7], v[22:23]
	v_fma_f64 v[12:13], v[8:9], v[20:21], -v[6:7]
	ds_write_b128 v197, v[10:13] offset:39744
	global_load_dwordx4 v[6:9], v[2:3], off
	global_load_dwordx4 v[12:15], v[16:17], off offset:2816
	s_waitcnt vmcnt(0)
	buffer_store_dword v12, off, s[36:39], 0 offset:284 ; 4-byte Folded Spill
	s_nop 0
	buffer_store_dword v13, off, s[36:39], 0 offset:288 ; 4-byte Folded Spill
	buffer_store_dword v14, off, s[36:39], 0 offset:292 ; 4-byte Folded Spill
	;; [unrolled: 1-line block ×3, first 2 shown]
	v_mul_f64 v[10:11], v[8:9], v[14:15]
	v_fmac_f64_e32 v[10:11], v[6:7], v[12:13]
	v_mul_f64 v[6:7], v[6:7], v[14:15]
	v_fma_f64 v[12:13], v[8:9], v[12:13], -v[6:7]
	ds_write_b128 v197, v[10:13] offset:6912
	v_mad_u64_u32 v[10:11], s[6:7], s4, v196, v[2:3]
	v_add_u32_e32 v11, s2, v11
	global_load_dwordx4 v[6:9], v[10:11], off
	global_load_dwordx4 v[12:15], v[0:1], off offset:3712
	v_mad_u64_u32 v[10:11], s[6:7], s4, v196, v[10:11]
	v_add_u32_e32 v11, s2, v11
	s_waitcnt vmcnt(0)
	buffer_store_dword v12, off, s[36:39], 0 offset:300 ; 4-byte Folded Spill
	s_nop 0
	buffer_store_dword v13, off, s[36:39], 0 offset:304 ; 4-byte Folded Spill
	buffer_store_dword v14, off, s[36:39], 0 offset:308 ; 4-byte Folded Spill
	;; [unrolled: 1-line block ×3, first 2 shown]
	v_mul_f64 v[0:1], v[8:9], v[14:15]
	v_mul_f64 v[2:3], v[6:7], v[14:15]
	v_fmac_f64_e32 v[0:1], v[6:7], v[12:13]
	v_fma_f64 v[2:3], v[8:9], v[12:13], -v[2:3]
	v_add_co_u32_e32 v12, vcc, s28, v166
	v_addc_co_u32_e32 v13, vcc, 0, v167, vcc
	global_load_dwordx4 v[14:17], v[12:13], off offset:512
	ds_write_b128 v197, v[0:3] offset:24192
	global_load_dwordx4 v[0:3], v[10:11], off
	v_add_co_u32_e32 v158, vcc, s31, v193
	v_mad_u64_u32 v[10:11], s[6:7], s4, v18, v[10:11]
	v_add_u32_e32 v11, s3, v11
                                        ; kill: killed $vgpr12 killed $vgpr13
	s_waitcnt vmcnt(1)
	buffer_store_dword v14, off, s[36:39], 0 offset:316 ; 4-byte Folded Spill
	s_nop 0
	buffer_store_dword v15, off, s[36:39], 0 offset:320 ; 4-byte Folded Spill
	buffer_store_dword v16, off, s[36:39], 0 offset:324 ; 4-byte Folded Spill
	;; [unrolled: 1-line block ×3, first 2 shown]
	s_waitcnt vmcnt(4)
	v_mul_f64 v[6:7], v[2:3], v[16:17]
	v_fmac_f64_e32 v[6:7], v[0:1], v[14:15]
	v_mul_f64 v[0:1], v[0:1], v[16:17]
	v_fma_f64 v[8:9], v[2:3], v[14:15], -v[0:1]
	v_add_co_u32_e32 v14, vcc, s30, v166
	v_addc_co_u32_e32 v15, vcc, 0, v167, vcc
	global_load_dwordx4 v[20:23], v[14:15], off offset:448
	global_load_dwordx4 v[0:3], v[10:11], off
	ds_write_b128 v197, v[6:9] offset:41472
	v_add_co_u32_e32 v16, vcc, s29, v166
	v_addc_co_u32_e32 v17, vcc, 0, v167, vcc
	v_mad_u64_u32 v[10:11], s[6:7], s4, v196, v[10:11]
	v_add_u32_e32 v11, s2, v11
	v_add_co_u32_e32 v168, vcc, s5, v193
	s_movk_i32 s5, 0x2f4
	v_add_co_u32_e32 v169, vcc, s5, v193
	s_movk_i32 s5, 0x7000
                                        ; kill: killed $vgpr16 killed $vgpr17
                                        ; kill: killed $vgpr14 killed $vgpr15
	s_waitcnt vmcnt(1)
	buffer_store_dword v20, off, s[36:39], 0 offset:380 ; 4-byte Folded Spill
	s_nop 0
	buffer_store_dword v21, off, s[36:39], 0 offset:384 ; 4-byte Folded Spill
	buffer_store_dword v22, off, s[36:39], 0 offset:388 ; 4-byte Folded Spill
	;; [unrolled: 1-line block ×3, first 2 shown]
	s_waitcnt vmcnt(4)
	v_mul_f64 v[6:7], v[2:3], v[22:23]
	v_fmac_f64_e32 v[6:7], v[0:1], v[20:21]
	v_mul_f64 v[0:1], v[0:1], v[22:23]
	v_fma_f64 v[8:9], v[2:3], v[20:21], -v[0:1]
	global_load_dwordx4 v[20:23], v[16:17], off offset:1344
	global_load_dwordx4 v[0:3], v[10:11], off
	ds_write_b128 v197, v[6:9] offset:8640
	v_mad_u64_u32 v[10:11], s[6:7], s4, v196, v[10:11]
	v_add_u32_e32 v11, s2, v11
	s_waitcnt vmcnt(1)
	buffer_store_dword v20, off, s[36:39], 0 offset:396 ; 4-byte Folded Spill
	s_nop 0
	buffer_store_dword v21, off, s[36:39], 0 offset:400 ; 4-byte Folded Spill
	buffer_store_dword v22, off, s[36:39], 0 offset:404 ; 4-byte Folded Spill
	;; [unrolled: 1-line block ×3, first 2 shown]
	s_waitcnt vmcnt(4)
	v_mul_f64 v[6:7], v[2:3], v[22:23]
	v_fmac_f64_e32 v[6:7], v[0:1], v[20:21]
	v_mul_f64 v[0:1], v[0:1], v[22:23]
	v_fma_f64 v[8:9], v[2:3], v[20:21], -v[0:1]
	ds_write_b128 v197, v[6:9] offset:25920
	global_load_dwordx4 v[0:3], v[10:11], off
	global_load_dwordx4 v[20:23], v[12:13], off offset:2240
	v_mad_u64_u32 v[10:11], s[6:7], s4, v18, v[10:11]
	v_add_u32_e32 v11, s3, v11
	s_waitcnt vmcnt(0)
	buffer_store_dword v20, off, s[36:39], 0 offset:348 ; 4-byte Folded Spill
	s_nop 0
	buffer_store_dword v21, off, s[36:39], 0 offset:352 ; 4-byte Folded Spill
	buffer_store_dword v22, off, s[36:39], 0 offset:356 ; 4-byte Folded Spill
	buffer_store_dword v23, off, s[36:39], 0 offset:360 ; 4-byte Folded Spill
	v_mul_f64 v[6:7], v[2:3], v[22:23]
	v_fmac_f64_e32 v[6:7], v[0:1], v[20:21]
	v_mul_f64 v[0:1], v[0:1], v[22:23]
	v_fma_f64 v[8:9], v[2:3], v[20:21], -v[0:1]
	ds_write_b128 v197, v[6:9] offset:43200
	global_load_dwordx4 v[0:3], v[10:11], off
	global_load_dwordx4 v[20:23], v[14:15], off offset:2176
	v_mad_u64_u32 v[10:11], s[6:7], s4, v196, v[10:11]
	v_add_u32_e32 v11, s2, v11
	s_waitcnt vmcnt(0)
	buffer_store_dword v20, off, s[36:39], 0 offset:412 ; 4-byte Folded Spill
	s_nop 0
	buffer_store_dword v21, off, s[36:39], 0 offset:416 ; 4-byte Folded Spill
	buffer_store_dword v22, off, s[36:39], 0 offset:420 ; 4-byte Folded Spill
	buffer_store_dword v23, off, s[36:39], 0 offset:424 ; 4-byte Folded Spill
	;; [unrolled: 15-line block ×3, first 2 shown]
	v_mul_f64 v[6:7], v[2:3], v[22:23]
	v_fmac_f64_e32 v[6:7], v[0:1], v[20:21]
	v_mul_f64 v[0:1], v[0:1], v[22:23]
	v_fma_f64 v[8:9], v[2:3], v[20:21], -v[0:1]
	ds_write_b128 v197, v[6:9] offset:27648
	global_load_dwordx4 v[0:3], v[10:11], off
	global_load_dwordx4 v[20:23], v[12:13], off offset:3968
	v_mad_u64_u32 v[10:11], s[6:7], s4, v18, v[10:11]
	v_add_u32_e32 v11, s3, v11
	v_add_co_u32_e32 v12, vcc, s5, v166
	v_addc_co_u32_e32 v13, vcc, 0, v167, vcc
	s_mov_b32 s5, 0xb000
	s_waitcnt vmcnt(0)
	buffer_store_dword v20, off, s[36:39], 0 offset:332 ; 4-byte Folded Spill
	s_nop 0
	buffer_store_dword v21, off, s[36:39], 0 offset:336 ; 4-byte Folded Spill
	buffer_store_dword v22, off, s[36:39], 0 offset:340 ; 4-byte Folded Spill
	;; [unrolled: 1-line block ×3, first 2 shown]
	v_mul_f64 v[6:7], v[2:3], v[22:23]
	v_fmac_f64_e32 v[6:7], v[0:1], v[20:21]
	v_mul_f64 v[0:1], v[0:1], v[22:23]
	v_fma_f64 v[8:9], v[2:3], v[20:21], -v[0:1]
	ds_write_b128 v197, v[6:9] offset:44928
	global_load_dwordx4 v[0:3], v[10:11], off
	global_load_dwordx4 v[20:23], v[14:15], off offset:3904
	v_mad_u64_u32 v[10:11], s[6:7], s4, v196, v[10:11]
	v_add_u32_e32 v11, s2, v11
	s_waitcnt vmcnt(0)
	buffer_store_dword v20, off, s[36:39], 0 offset:428 ; 4-byte Folded Spill
	s_nop 0
	buffer_store_dword v21, off, s[36:39], 0 offset:432 ; 4-byte Folded Spill
	buffer_store_dword v22, off, s[36:39], 0 offset:436 ; 4-byte Folded Spill
	;; [unrolled: 1-line block ×3, first 2 shown]
	global_load_dwordx4 v[14:17], v[12:13], off offset:704
	v_mul_f64 v[6:7], v[2:3], v[22:23]
	v_fmac_f64_e32 v[6:7], v[0:1], v[20:21]
	v_mul_f64 v[0:1], v[0:1], v[22:23]
	v_fma_f64 v[8:9], v[2:3], v[20:21], -v[0:1]
	global_load_dwordx4 v[0:3], v[10:11], off
	ds_write_b128 v197, v[6:9] offset:12096
	s_waitcnt vmcnt(1)
	buffer_store_dword v14, off, s[36:39], 0 offset:444 ; 4-byte Folded Spill
	s_nop 0
	buffer_store_dword v15, off, s[36:39], 0 offset:448 ; 4-byte Folded Spill
	buffer_store_dword v16, off, s[36:39], 0 offset:452 ; 4-byte Folded Spill
	;; [unrolled: 1-line block ×3, first 2 shown]
	v_mad_u64_u32 v[10:11], s[6:7], s4, v196, v[10:11]
	v_add_u32_e32 v11, s2, v11
	s_waitcnt vmcnt(4)
	v_mul_f64 v[6:7], v[2:3], v[16:17]
	v_fmac_f64_e32 v[6:7], v[0:1], v[14:15]
	v_mul_f64 v[0:1], v[0:1], v[16:17]
	v_fma_f64 v[8:9], v[2:3], v[14:15], -v[0:1]
	v_add_co_u32_e32 v14, vcc, s5, v166
	v_addc_co_u32_e32 v15, vcc, 0, v167, vcc
	global_load_dwordx4 v[20:23], v[14:15], off offset:1600
	global_load_dwordx4 v[0:3], v[10:11], off
	ds_write_b128 v197, v[6:9] offset:29376
	s_movk_i32 s5, 0x360
	v_add_co_u32_e32 v174, vcc, s5, v193
	s_movk_i32 s5, 0x3000
	v_add_co_u32_e32 v16, vcc, s5, v166
	v_addc_co_u32_e32 v17, vcc, 0, v167, vcc
	v_mad_u64_u32 v[10:11], s[6:7], s4, v18, v[10:11]
	v_add_u32_e32 v11, s3, v11
	s_movk_i32 s5, 0x3cc
	v_add_co_u32_e32 v175, vcc, s5, v193
	s_waitcnt vmcnt(1)
	buffer_store_dword v20, off, s[36:39], 0 offset:460 ; 4-byte Folded Spill
	s_nop 0
	buffer_store_dword v21, off, s[36:39], 0 offset:464 ; 4-byte Folded Spill
	buffer_store_dword v22, off, s[36:39], 0 offset:468 ; 4-byte Folded Spill
	buffer_store_dword v23, off, s[36:39], 0 offset:472 ; 4-byte Folded Spill
	s_waitcnt vmcnt(4)
	v_mul_f64 v[6:7], v[2:3], v[22:23]
	v_fmac_f64_e32 v[6:7], v[0:1], v[20:21]
	v_mul_f64 v[0:1], v[0:1], v[22:23]
	v_fma_f64 v[8:9], v[2:3], v[20:21], -v[0:1]
	global_load_dwordx4 v[20:23], v[16:17], off offset:1536
	global_load_dwordx4 v[0:3], v[10:11], off
	ds_write_b128 v197, v[6:9] offset:46656
	v_mad_u64_u32 v[10:11], s[6:7], s4, v196, v[10:11]
	v_add_u32_e32 v11, s2, v11
	s_waitcnt vmcnt(1)
	buffer_store_dword v20, off, s[36:39], 0 offset:524 ; 4-byte Folded Spill
	s_nop 0
	buffer_store_dword v21, off, s[36:39], 0 offset:528 ; 4-byte Folded Spill
	buffer_store_dword v22, off, s[36:39], 0 offset:532 ; 4-byte Folded Spill
	;; [unrolled: 1-line block ×3, first 2 shown]
	s_waitcnt vmcnt(4)
	v_mul_f64 v[6:7], v[2:3], v[22:23]
	v_fmac_f64_e32 v[6:7], v[0:1], v[20:21]
	v_mul_f64 v[0:1], v[0:1], v[22:23]
	v_fma_f64 v[8:9], v[2:3], v[20:21], -v[0:1]
	ds_write_b128 v197, v[6:9] offset:13824
	global_load_dwordx4 v[0:3], v[10:11], off
	global_load_dwordx4 v[20:23], v[12:13], off offset:2432
	v_mad_u64_u32 v[10:11], s[6:7], s4, v196, v[10:11]
	v_add_u32_e32 v11, s2, v11
	s_waitcnt vmcnt(0)
	buffer_store_dword v20, off, s[36:39], 0 offset:492 ; 4-byte Folded Spill
	s_nop 0
	buffer_store_dword v21, off, s[36:39], 0 offset:496 ; 4-byte Folded Spill
	buffer_store_dword v22, off, s[36:39], 0 offset:500 ; 4-byte Folded Spill
	;; [unrolled: 1-line block ×3, first 2 shown]
	v_mul_f64 v[6:7], v[2:3], v[22:23]
	v_fmac_f64_e32 v[6:7], v[0:1], v[20:21]
	v_mul_f64 v[0:1], v[0:1], v[22:23]
	v_fma_f64 v[8:9], v[2:3], v[20:21], -v[0:1]
	ds_write_b128 v197, v[6:9] offset:31104
	global_load_dwordx4 v[0:3], v[10:11], off
	s_nop 0
	global_load_dwordx4 v[12:15], v[14:15], off offset:3328
	v_mad_u64_u32 v[10:11], s[6:7], s4, v18, v[10:11]
	v_add_u32_e32 v11, s3, v11
	s_waitcnt vmcnt(0)
	buffer_store_dword v12, off, s[36:39], 0 offset:476 ; 4-byte Folded Spill
	s_nop 0
	buffer_store_dword v13, off, s[36:39], 0 offset:480 ; 4-byte Folded Spill
	buffer_store_dword v14, off, s[36:39], 0 offset:484 ; 4-byte Folded Spill
	;; [unrolled: 1-line block ×3, first 2 shown]
	v_mul_f64 v[6:7], v[2:3], v[14:15]
	v_fmac_f64_e32 v[6:7], v[0:1], v[12:13]
	v_mul_f64 v[0:1], v[0:1], v[14:15]
	v_fma_f64 v[8:9], v[2:3], v[12:13], -v[0:1]
	ds_write_b128 v197, v[6:9] offset:48384
	global_load_dwordx4 v[0:3], v[10:11], off
	global_load_dwordx4 v[12:15], v[16:17], off offset:3264
	s_waitcnt vmcnt(0)
	buffer_store_dword v12, off, s[36:39], 0 offset:508 ; 4-byte Folded Spill
	s_nop 0
	buffer_store_dword v13, off, s[36:39], 0 offset:512 ; 4-byte Folded Spill
	buffer_store_dword v14, off, s[36:39], 0 offset:516 ; 4-byte Folded Spill
	;; [unrolled: 1-line block ×3, first 2 shown]
	v_mul_f64 v[6:7], v[2:3], v[14:15]
	v_fmac_f64_e32 v[6:7], v[0:1], v[12:13]
	v_mul_f64 v[0:1], v[0:1], v[14:15]
	v_fma_f64 v[8:9], v[2:3], v[12:13], -v[0:1]
	ds_write_b128 v197, v[6:9] offset:15552
	v_mad_u64_u32 v[6:7], s[6:7], s4, v196, v[10:11]
	v_add_u32_e32 v7, s2, v7
	global_load_dwordx4 v[0:3], v[6:7], off
	global_load_dwordx4 v[10:13], v[4:5], off offset:64
	s_movk_i32 s6, 0xab
	s_waitcnt vmcnt(0)
	buffer_store_dword v10, off, s[36:39], 0 offset:540 ; 4-byte Folded Spill
	s_nop 0
	buffer_store_dword v11, off, s[36:39], 0 offset:544 ; 4-byte Folded Spill
	buffer_store_dword v12, off, s[36:39], 0 offset:548 ; 4-byte Folded Spill
	;; [unrolled: 1-line block ×3, first 2 shown]
	v_mul_f64 v[8:9], v[2:3], v[12:13]
	v_fmac_f64_e32 v[8:9], v[0:1], v[10:11]
	v_mul_f64 v[0:1], v[0:1], v[12:13]
	v_fma_f64 v[10:11], v[2:3], v[10:11], -v[0:1]
	v_mad_u64_u32 v[0:1], s[4:5], s4, v196, v[6:7]
	v_add_u32_e32 v1, s2, v1
	s_mov_b32 s2, 0xc000
	ds_write_b128 v197, v[8:11] offset:32832
	v_add_co_u32_e32 v8, vcc, s2, v166
	v_addc_co_u32_e32 v9, vcc, 0, v167, vcc
	global_load_dwordx4 v[4:7], v[8:9], off offset:960
	v_accvgpr_write_b32 a53, v9
	global_load_dwordx4 v[0:3], v[0:1], off
	v_accvgpr_write_b32 a52, v8
	s_mov_b32 s2, 0xe8584caa
	s_mov_b32 s3, 0x3febb67a
	;; [unrolled: 1-line block ×4, first 2 shown]
	s_waitcnt vmcnt(1)
	v_pk_mov_b32 v[8:9], v[6:7], v[6:7] op_sel:[0,1]
	v_pk_mov_b32 v[6:7], v[4:5], v[4:5] op_sel:[0,1]
	s_waitcnt vmcnt(0)
	v_mul_f64 v[4:5], v[2:3], v[8:9]
	v_fmac_f64_e32 v[4:5], v[0:1], v[6:7]
	v_mul_f64 v[0:1], v[0:1], v[8:9]
	buffer_store_dword v6, off, s[36:39], 0 offset:204 ; 4-byte Folded Spill
	s_nop 0
	buffer_store_dword v7, off, s[36:39], 0 offset:208 ; 4-byte Folded Spill
	buffer_store_dword v8, off, s[36:39], 0 offset:212 ; 4-byte Folded Spill
	buffer_store_dword v9, off, s[36:39], 0 offset:216 ; 4-byte Folded Spill
	v_fma_f64 v[6:7], v[2:3], v[6:7], -v[0:1]
	ds_write_b128 v197, v[4:7] offset:50112
	s_waitcnt lgkmcnt(0)
	s_barrier
	ds_read_b128 v[32:35], v197
	ds_read_b128 v[40:43], v197 offset:17280
	ds_read_b128 v[44:47], v197 offset:34560
	;; [unrolled: 1-line block ×29, first 2 shown]
	s_waitcnt lgkmcnt(14)
	v_add_f64 v[72:73], v[32:33], v[40:41]
	v_add_f64 v[100:101], v[72:73], v[44:45]
	;; [unrolled: 1-line block ×3, first 2 shown]
	v_fmac_f64_e32 v[32:33], -0.5, v[72:73]
	v_add_f64 v[74:75], v[42:43], -v[46:47]
	v_fma_f64 v[72:73], s[2:3], v[74:75], v[32:33]
	v_fmac_f64_e32 v[32:33], s[4:5], v[74:75]
	v_add_f64 v[74:75], v[34:35], v[42:43]
	v_add_f64 v[42:43], v[42:43], v[46:47]
	v_fmac_f64_e32 v[34:35], -0.5, v[42:43]
	v_add_f64 v[40:41], v[40:41], -v[44:45]
	v_add_f64 v[102:103], v[74:75], v[46:47]
	v_fma_f64 v[74:75], s[4:5], v[40:41], v[34:35]
	v_fmac_f64_e32 v[34:35], s[2:3], v[40:41]
	v_add_f64 v[40:41], v[0:1], v[48:49]
	v_add_f64 v[44:45], v[40:41], v[52:53]
	;; [unrolled: 1-line block ×3, first 2 shown]
	v_fmac_f64_e32 v[0:1], -0.5, v[40:41]
	v_add_f64 v[42:43], v[50:51], -v[54:55]
	v_fma_f64 v[40:41], s[2:3], v[42:43], v[0:1]
	v_fmac_f64_e32 v[0:1], s[4:5], v[42:43]
	v_add_f64 v[42:43], v[2:3], v[50:51]
	v_add_f64 v[46:47], v[42:43], v[54:55]
	;; [unrolled: 1-line block ×3, first 2 shown]
	v_fmac_f64_e32 v[2:3], -0.5, v[42:43]
	v_add_f64 v[48:49], v[48:49], -v[52:53]
	v_add_f64 v[50:51], v[64:65], v[68:69]
	v_fma_f64 v[42:43], s[4:5], v[48:49], v[2:3]
	v_fmac_f64_e32 v[2:3], s[2:3], v[48:49]
	v_add_f64 v[48:49], v[4:5], v[64:65]
	v_fmac_f64_e32 v[4:5], -0.5, v[50:51]
	v_add_f64 v[50:51], v[66:67], -v[70:71]
	v_add_f64 v[54:55], v[66:67], v[70:71]
	v_fma_f64 v[52:53], s[2:3], v[50:51], v[4:5]
	v_fmac_f64_e32 v[4:5], s[4:5], v[50:51]
	v_add_f64 v[50:51], v[6:7], v[66:67]
	v_fmac_f64_e32 v[6:7], -0.5, v[54:55]
	v_add_f64 v[64:65], v[64:65], -v[68:69]
	v_add_f64 v[66:67], v[76:77], v[80:81]
	v_add_f64 v[50:51], v[50:51], v[70:71]
	v_fma_f64 v[54:55], s[4:5], v[64:65], v[6:7]
	v_fmac_f64_e32 v[6:7], s[2:3], v[64:65]
	v_add_f64 v[64:65], v[8:9], v[76:77]
	v_fmac_f64_e32 v[8:9], -0.5, v[66:67]
	v_add_f64 v[66:67], v[78:79], -v[82:83]
	v_add_f64 v[70:71], v[78:79], v[82:83]
	;; [unrolled: 7-line block ×4, first 2 shown]
	v_add_f64 v[64:65], v[64:65], v[80:81]
	v_fma_f64 v[80:81], s[2:3], v[78:79], v[16:17]
	v_fmac_f64_e32 v[16:17], s[4:5], v[78:79]
	v_add_f64 v[78:79], v[18:19], v[94:95]
	v_fmac_f64_e32 v[18:19], -0.5, v[82:83]
	v_add_f64 v[92:93], v[92:93], -v[96:97]
	v_fma_f64 v[82:83], s[4:5], v[92:93], v[18:19]
	v_fmac_f64_e32 v[18:19], s[2:3], v[92:93]
	s_waitcnt lgkmcnt(13)
	v_add_f64 v[92:93], v[20:21], v[104:105]
	v_add_f64 v[76:77], v[76:77], v[96:97]
	s_waitcnt lgkmcnt(12)
	v_add_f64 v[96:97], v[92:93], v[108:109]
	v_add_f64 v[92:93], v[104:105], v[108:109]
	v_fmac_f64_e32 v[20:21], -0.5, v[92:93]
	v_add_f64 v[94:95], v[106:107], -v[110:111]
	v_fma_f64 v[92:93], s[2:3], v[94:95], v[20:21]
	v_fmac_f64_e32 v[20:21], s[4:5], v[94:95]
	v_add_f64 v[94:95], v[22:23], v[106:107]
	v_add_f64 v[78:79], v[78:79], v[98:99]
	;; [unrolled: 1-line block ×4, first 2 shown]
	v_fmac_f64_e32 v[22:23], -0.5, v[94:95]
	v_add_f64 v[104:105], v[104:105], -v[108:109]
	v_fma_f64 v[94:95], s[4:5], v[104:105], v[22:23]
	v_fmac_f64_e32 v[22:23], s[2:3], v[104:105]
	s_waitcnt lgkmcnt(10)
	v_add_f64 v[104:105], v[28:29], v[120:121]
	s_waitcnt lgkmcnt(9)
	v_add_f64 v[108:109], v[104:105], v[124:125]
	v_add_f64 v[104:105], v[120:121], v[124:125]
	v_fmac_f64_e32 v[28:29], -0.5, v[104:105]
	v_add_f64 v[106:107], v[122:123], -v[126:127]
	v_fma_f64 v[104:105], s[2:3], v[106:107], v[28:29]
	v_fmac_f64_e32 v[28:29], s[4:5], v[106:107]
	v_add_f64 v[106:107], v[30:31], v[122:123]
	v_add_f64 v[110:111], v[106:107], v[126:127]
	;; [unrolled: 1-line block ×3, first 2 shown]
	v_fmac_f64_e32 v[30:31], -0.5, v[106:107]
	v_add_f64 v[120:121], v[120:121], -v[124:125]
	v_fma_f64 v[106:107], s[4:5], v[120:121], v[30:31]
	v_fmac_f64_e32 v[30:31], s[2:3], v[120:121]
	s_waitcnt lgkmcnt(7)
	v_add_f64 v[120:121], v[36:37], v[112:113]
	s_waitcnt lgkmcnt(6)
	v_add_f64 v[124:125], v[120:121], v[116:117]
	v_add_f64 v[120:121], v[112:113], v[116:117]
	v_fmac_f64_e32 v[36:37], -0.5, v[120:121]
	v_add_f64 v[122:123], v[114:115], -v[118:119]
	v_fma_f64 v[120:121], s[2:3], v[122:123], v[36:37]
	v_fmac_f64_e32 v[36:37], s[4:5], v[122:123]
	v_add_f64 v[122:123], v[38:39], v[114:115]
	v_add_f64 v[114:115], v[114:115], v[118:119]
	v_fmac_f64_e32 v[38:39], -0.5, v[114:115]
	v_add_f64 v[112:113], v[112:113], -v[116:117]
	v_add_f64 v[126:127], v[122:123], v[118:119]
	v_fma_f64 v[122:123], s[4:5], v[112:113], v[38:39]
	v_fmac_f64_e32 v[38:39], s[2:3], v[112:113]
	s_waitcnt lgkmcnt(4)
	v_add_f64 v[112:113], v[24:25], v[84:85]
	s_waitcnt lgkmcnt(3)
	v_add_f64 v[116:117], v[112:113], v[88:89]
	v_add_f64 v[112:113], v[84:85], v[88:89]
	v_fmac_f64_e32 v[24:25], -0.5, v[112:113]
	v_add_f64 v[114:115], v[86:87], -v[90:91]
	v_fma_f64 v[112:113], s[2:3], v[114:115], v[24:25]
	v_fmac_f64_e32 v[24:25], s[4:5], v[114:115]
	v_add_f64 v[114:115], v[26:27], v[86:87]
	v_add_f64 v[86:87], v[86:87], v[90:91]
	v_fmac_f64_e32 v[26:27], -0.5, v[86:87]
	v_add_f64 v[84:85], v[84:85], -v[88:89]
	v_add_f64 v[118:119], v[114:115], v[90:91]
	;; [unrolled: 16-line block ×3, first 2 shown]
	v_fma_f64 v[86:87], s[4:5], v[56:57], v[14:15]
	v_fmac_f64_e32 v[14:15], s[2:3], v[56:57]
	v_mul_lo_u16_e32 v56, 3, v193
	v_lshlrev_b32_e32 v56, 4, v56
	s_barrier
	ds_write_b128 v56, v[100:103]
	buffer_store_dword v56, off, s[36:39], 0 offset:12 ; 4-byte Folded Spill
	ds_write_b128 v56, v[72:75] offset:16
	ds_write_b128 v56, v[32:35] offset:32
	v_mul_u32_u24_e32 v32, 3, v170
	v_lshlrev_b32_e32 v32, 4, v32
	ds_write_b128 v32, v[44:47]
	buffer_store_dword v32, off, s[36:39], 0 offset:20 ; 4-byte Folded Spill
	ds_write_b128 v32, v[40:43] offset:16
	ds_write_b128 v32, v[0:3] offset:32
	v_mul_u32_u24_e32 v0, 3, v171
	v_lshlrev_b32_e32 v0, 4, v0
	buffer_store_dword v0, off, s[36:39], 0 offset:48 ; 4-byte Folded Spill
	ds_write_b128 v0, v[48:51]
	ds_write_b128 v0, v[52:55] offset:16
	ds_write_b128 v0, v[4:7] offset:32
	v_mul_u32_u24_e32 v0, 3, v172
	v_lshlrev_b32_e32 v0, 4, v0
	buffer_store_dword v0, off, s[36:39], 0 offset:44 ; 4-byte Folded Spill
	ds_write_b128 v0, v[64:67]
	;; [unrolled: 6-line block ×6, first 2 shown]
	ds_write_b128 v0, v[120:123] offset:16
	ds_write_b128 v0, v[36:39] offset:32
	v_mul_lo_u16_sdwa v120, v193, s6 dst_sel:DWORD dst_unused:UNUSED_PAD src0_sel:BYTE_0 src1_sel:DWORD
	v_lshrrev_b16_e32 v182, 9, v120
	v_mul_u32_u24_e32 v0, 3, v174
	v_mul_lo_u16_e32 v120, 3, v182
	v_lshlrev_b32_e32 v0, 4, v0
	v_sub_u16_e32 v120, v193, v120
	buffer_store_dword v0, off, s[36:39], 0 offset:4 ; 4-byte Folded Spill
	ds_write_b128 v0, v[116:119]
	ds_write_b128 v0, v[112:115] offset:16
	ds_write_b128 v0, v[24:27] offset:32
	v_mul_u32_u24_e32 v0, 3, v175
	v_and_b32_e32 v183, 0xff, v120
	v_lshlrev_b32_e32 v0, 4, v0
	v_lshlrev_b32_e32 v120, 5, v183
	buffer_store_dword v0, off, s[36:39], 0 ; 4-byte Folded Spill
	ds_write_b128 v0, v[88:91]
	ds_write_b128 v0, v[84:87] offset:16
	ds_write_b128 v0, v[12:15] offset:32
	s_waitcnt lgkmcnt(0)
	s_barrier
	ds_read_b128 v[36:39], v197
	ds_read_b128 v[116:119], v197 offset:17280
	ds_read_b128 v[112:115], v197 offset:34560
	;; [unrolled: 1-line block ×29, first 2 shown]
	global_load_dwordx4 v[124:127], v120, s[10:11] offset:16
	global_load_dwordx4 v[128:131], v120, s[10:11]
	s_waitcnt vmcnt(0)
	buffer_store_dword v128, off, s[36:39], 0 offset:572 ; 4-byte Folded Spill
	s_nop 0
	buffer_store_dword v129, off, s[36:39], 0 offset:576 ; 4-byte Folded Spill
	buffer_store_dword v130, off, s[36:39], 0 offset:580 ; 4-byte Folded Spill
	;; [unrolled: 1-line block ×3, first 2 shown]
	s_waitcnt lgkmcnt(14)
	v_mul_f64 v[120:121], v[118:119], v[130:131]
	v_mul_f64 v[122:123], v[116:117], v[130:131]
	v_fma_f64 v[120:121], v[116:117], v[128:129], -v[120:121]
	v_fmac_f64_e32 v[122:123], v[118:119], v[128:129]
	v_pk_mov_b32 v[128:129], v[126:127], v[126:127] op_sel:[0,1]
	v_pk_mov_b32 v[126:127], v[124:125], v[124:125] op_sel:[0,1]
	buffer_store_dword v126, off, s[36:39], 0 offset:556 ; 4-byte Folded Spill
	s_nop 0
	buffer_store_dword v127, off, s[36:39], 0 offset:560 ; 4-byte Folded Spill
	buffer_store_dword v128, off, s[36:39], 0 offset:564 ; 4-byte Folded Spill
	;; [unrolled: 1-line block ×3, first 2 shown]
	v_mul_f64 v[116:117], v[114:115], v[128:129]
	v_fma_f64 v[124:125], v[112:113], v[126:127], -v[116:117]
	v_mul_f64 v[112:113], v[112:113], v[128:129]
	v_fmac_f64_e32 v[112:113], v[114:115], v[126:127]
	v_mul_lo_u16_sdwa v114, v170, s6 dst_sel:DWORD dst_unused:UNUSED_PAD src0_sel:BYTE_0 src1_sel:DWORD
	v_lshrrev_b16_e32 v176, 9, v114
	v_mul_lo_u16_e32 v114, 3, v176
	v_sub_u16_e32 v114, v170, v114
	v_and_b32_e32 v177, 0xff, v114
	v_lshlrev_b32_e32 v114, 5, v177
	global_load_dwordx4 v[116:119], v114, s[10:11] offset:16
	global_load_dwordx4 v[130:133], v114, s[10:11]
	s_waitcnt vmcnt(0)
	buffer_store_dword v130, off, s[36:39], 0 offset:604 ; 4-byte Folded Spill
	s_nop 0
	buffer_store_dword v131, off, s[36:39], 0 offset:608 ; 4-byte Folded Spill
	buffer_store_dword v132, off, s[36:39], 0 offset:612 ; 4-byte Folded Spill
	;; [unrolled: 1-line block ×4, first 2 shown]
	s_nop 0
	buffer_store_dword v117, off, s[36:39], 0 offset:592 ; 4-byte Folded Spill
	buffer_store_dword v118, off, s[36:39], 0 offset:596 ; 4-byte Folded Spill
	;; [unrolled: 1-line block ×3, first 2 shown]
	s_mov_b32 s6, 0xaaab
	v_mul_f64 v[114:115], v[110:111], v[132:133]
	v_fma_f64 v[126:127], v[108:109], v[130:131], -v[114:115]
	v_mul_f64 v[128:129], v[108:109], v[132:133]
	v_mul_f64 v[108:109], v[106:107], v[118:119]
	v_fmac_f64_e32 v[128:129], v[110:111], v[130:131]
	v_fma_f64 v[130:131], v[104:105], v[116:117], -v[108:109]
	v_mul_f64 v[132:133], v[104:105], v[118:119]
	v_mul_u32_u24_sdwa v104, v171, s6 dst_sel:DWORD dst_unused:UNUSED_PAD src0_sel:WORD_0 src1_sel:DWORD
	v_lshrrev_b32_e32 v178, 17, v104
	v_mul_lo_u16_e32 v104, 3, v178
	v_sub_u16_e32 v179, v171, v104
	v_lshlrev_b16_e32 v104, 1, v179
	v_lshlrev_b32_e32 v104, 4, v104
	v_fmac_f64_e32 v[132:133], v[106:107], v[116:117]
	global_load_dwordx4 v[106:109], v104, s[10:11] offset:16
	global_load_dwordx4 v[114:117], v104, s[10:11]
	s_waitcnt vmcnt(0)
	buffer_store_dword v114, off, s[36:39], 0 offset:636 ; 4-byte Folded Spill
	s_nop 0
	buffer_store_dword v115, off, s[36:39], 0 offset:640 ; 4-byte Folded Spill
	buffer_store_dword v116, off, s[36:39], 0 offset:644 ; 4-byte Folded Spill
	;; [unrolled: 1-line block ×4, first 2 shown]
	s_nop 0
	buffer_store_dword v107, off, s[36:39], 0 offset:624 ; 4-byte Folded Spill
	buffer_store_dword v108, off, s[36:39], 0 offset:628 ; 4-byte Folded Spill
	;; [unrolled: 1-line block ×3, first 2 shown]
	v_mul_f64 v[104:105], v[102:103], v[116:117]
	v_fma_f64 v[134:135], v[100:101], v[114:115], -v[104:105]
	v_mul_f64 v[136:137], v[100:101], v[116:117]
	v_mul_f64 v[100:101], v[98:99], v[108:109]
	v_fma_f64 v[138:139], v[96:97], v[106:107], -v[100:101]
	v_mul_f64 v[140:141], v[96:97], v[108:109]
	v_mul_u32_u24_sdwa v96, v172, s6 dst_sel:DWORD dst_unused:UNUSED_PAD src0_sel:WORD_0 src1_sel:DWORD
	v_lshrrev_b32_e32 v180, 17, v96
	v_mul_lo_u16_e32 v96, 3, v180
	v_sub_u16_e32 v181, v172, v96
	v_lshlrev_b16_e32 v96, 1, v181
	v_lshlrev_b32_e32 v96, 4, v96
	v_fmac_f64_e32 v[136:137], v[102:103], v[114:115]
	v_fmac_f64_e32 v[140:141], v[98:99], v[106:107]
	global_load_dwordx4 v[98:101], v96, s[10:11] offset:16
	global_load_dwordx4 v[102:105], v96, s[10:11]
	s_waitcnt vmcnt(0)
	buffer_store_dword v102, off, s[36:39], 0 offset:668 ; 4-byte Folded Spill
	s_nop 0
	buffer_store_dword v103, off, s[36:39], 0 offset:672 ; 4-byte Folded Spill
	buffer_store_dword v104, off, s[36:39], 0 offset:676 ; 4-byte Folded Spill
	;; [unrolled: 1-line block ×4, first 2 shown]
	s_nop 0
	buffer_store_dword v99, off, s[36:39], 0 offset:656 ; 4-byte Folded Spill
	buffer_store_dword v100, off, s[36:39], 0 offset:660 ; 4-byte Folded Spill
	;; [unrolled: 1-line block ×3, first 2 shown]
	v_mul_f64 v[96:97], v[94:95], v[104:105]
	v_fma_f64 v[142:143], v[92:93], v[102:103], -v[96:97]
	v_mul_f64 v[144:145], v[92:93], v[104:105]
	v_mul_f64 v[92:93], v[90:91], v[100:101]
	v_fma_f64 v[146:147], v[88:89], v[98:99], -v[92:93]
	v_mul_f64 v[148:149], v[88:89], v[100:101]
	v_mul_u32_u24_sdwa v88, v173, s6 dst_sel:DWORD dst_unused:UNUSED_PAD src0_sel:WORD_0 src1_sel:DWORD
	v_lshrrev_b32_e32 v184, 17, v88
	v_mul_lo_u16_e32 v88, 3, v184
	v_sub_u16_e32 v185, v173, v88
	v_lshlrev_b16_e32 v88, 1, v185
	v_lshlrev_b32_e32 v88, 4, v88
	v_fmac_f64_e32 v[144:145], v[94:95], v[102:103]
	v_fmac_f64_e32 v[148:149], v[90:91], v[98:99]
	global_load_dwordx4 v[90:93], v88, s[10:11] offset:16
	global_load_dwordx4 v[94:97], v88, s[10:11]
	s_waitcnt vmcnt(0)
	v_mul_f64 v[88:89], v[86:87], v[96:97]
	v_fma_f64 v[150:151], v[84:85], v[94:95], -v[88:89]
	buffer_store_dword v94, off, s[36:39], 0 offset:700 ; 4-byte Folded Spill
	s_nop 0
	buffer_store_dword v95, off, s[36:39], 0 offset:704 ; 4-byte Folded Spill
	buffer_store_dword v96, off, s[36:39], 0 offset:708 ; 4-byte Folded Spill
	;; [unrolled: 1-line block ×4, first 2 shown]
	s_nop 0
	buffer_store_dword v91, off, s[36:39], 0 offset:688 ; 4-byte Folded Spill
	buffer_store_dword v92, off, s[36:39], 0 offset:692 ; 4-byte Folded Spill
	buffer_store_dword v93, off, s[36:39], 0 offset:696 ; 4-byte Folded Spill
	v_mul_f64 v[152:153], v[84:85], v[96:97]
	v_mul_f64 v[84:85], v[82:83], v[92:93]
	v_fma_f64 v[154:155], v[80:81], v[90:91], -v[84:85]
	v_mul_f64 v[156:157], v[80:81], v[92:93]
	v_mul_u32_u24_sdwa v80, v158, s6 dst_sel:DWORD dst_unused:UNUSED_PAD src0_sel:WORD_0 src1_sel:DWORD
	v_lshrrev_b32_e32 v190, 17, v80
	v_mul_lo_u16_e32 v80, 3, v190
	v_sub_u16_e32 v192, v158, v80
	v_lshlrev_b16_e32 v80, 1, v192
	v_lshlrev_b32_e32 v80, 4, v80
	v_fmac_f64_e32 v[152:153], v[86:87], v[94:95]
	v_fmac_f64_e32 v[156:157], v[82:83], v[90:91]
	global_load_dwordx4 v[82:85], v80, s[10:11] offset:16
	global_load_dwordx4 v[86:89], v80, s[10:11]
	s_waitcnt vmcnt(0)
	buffer_store_dword v86, off, s[36:39], 0 offset:716 ; 4-byte Folded Spill
	s_nop 0
	buffer_store_dword v87, off, s[36:39], 0 offset:720 ; 4-byte Folded Spill
	buffer_store_dword v88, off, s[36:39], 0 offset:724 ; 4-byte Folded Spill
	;; [unrolled: 1-line block ×4, first 2 shown]
	s_nop 0
	buffer_store_dword v83, off, s[36:39], 0 offset:736 ; 4-byte Folded Spill
	buffer_store_dword v84, off, s[36:39], 0 offset:740 ; 4-byte Folded Spill
	;; [unrolled: 1-line block ×3, first 2 shown]
	s_waitcnt lgkmcnt(13)
	v_mul_f64 v[80:81], v[78:79], v[88:89]
	v_fma_f64 v[158:159], v[76:77], v[86:87], -v[80:81]
	v_mul_f64 v[160:161], v[76:77], v[88:89]
	s_waitcnt lgkmcnt(12)
	v_mul_f64 v[76:77], v[74:75], v[84:85]
	v_fma_f64 v[162:163], v[72:73], v[82:83], -v[76:77]
	v_mul_f64 v[164:165], v[72:73], v[84:85]
	v_mul_u32_u24_sdwa v72, v168, s6 dst_sel:DWORD dst_unused:UNUSED_PAD src0_sel:WORD_0 src1_sel:DWORD
	v_lshrrev_b32_e32 v189, 17, v72
	v_mul_lo_u16_e32 v72, 3, v189
	v_sub_u16_e32 v191, v168, v72
	v_lshlrev_b16_e32 v72, 1, v191
	v_lshlrev_b32_e32 v72, 4, v72
	v_fmac_f64_e32 v[160:161], v[78:79], v[86:87]
	v_fmac_f64_e32 v[164:165], v[74:75], v[82:83]
	global_load_dwordx4 v[74:77], v72, s[10:11] offset:16
	global_load_dwordx4 v[78:81], v72, s[10:11]
	s_waitcnt vmcnt(0)
	buffer_store_dword v78, off, s[36:39], 0 offset:748 ; 4-byte Folded Spill
	s_nop 0
	buffer_store_dword v79, off, s[36:39], 0 offset:752 ; 4-byte Folded Spill
	buffer_store_dword v80, off, s[36:39], 0 offset:756 ; 4-byte Folded Spill
	;; [unrolled: 1-line block ×3, first 2 shown]
	s_waitcnt lgkmcnt(9)
	v_mul_f64 v[202:203], v[64:65], v[76:77]
	v_fmac_f64_e32 v[202:203], v[66:67], v[74:75]
	v_accvgpr_write_b32 a221, v77
	v_accvgpr_write_b32 a220, v76
	;; [unrolled: 1-line block ×4, first 2 shown]
	v_mul_f64 v[72:73], v[70:71], v[80:81]
	v_fma_f64 v[194:195], v[68:69], v[78:79], -v[72:73]
	v_mul_f64 v[198:199], v[68:69], v[80:81]
	v_mul_f64 v[68:69], v[66:67], v[76:77]
	v_fma_f64 v[200:201], v[64:65], v[74:75], -v[68:69]
	v_mul_u32_u24_sdwa v64, v169, s6 dst_sel:DWORD dst_unused:UNUSED_PAD src0_sel:WORD_0 src1_sel:DWORD
	v_lshrrev_b32_e32 v187, 17, v64
	v_mul_lo_u16_e32 v64, 3, v187
	v_sub_u16_e32 v188, v169, v64
	v_lshlrev_b16_e32 v64, 1, v188
	v_lshlrev_b32_e32 v64, 4, v64
	v_fmac_f64_e32 v[198:199], v[70:71], v[78:79]
	global_load_dwordx4 v[66:69], v64, s[10:11] offset:16
	global_load_dwordx4 v[70:73], v64, s[10:11]
	s_waitcnt vmcnt(1) lgkmcnt(6)
	v_mul_f64 v[210:211], v[56:57], v[68:69]
	s_waitcnt vmcnt(0)
	v_mul_f64 v[64:65], v[62:63], v[72:73]
	v_fma_f64 v[204:205], v[60:61], v[70:71], -v[64:65]
	v_mul_f64 v[206:207], v[60:61], v[72:73]
	v_mul_f64 v[60:61], v[58:59], v[68:69]
	v_fma_f64 v[208:209], v[56:57], v[66:67], -v[60:61]
	v_mul_u32_u24_sdwa v56, v174, s6 dst_sel:DWORD dst_unused:UNUSED_PAD src0_sel:WORD_0 src1_sel:DWORD
	v_lshrrev_b32_e32 v186, 17, v56
	v_mul_lo_u16_e32 v56, 3, v186
	v_sub_u16_e32 v174, v174, v56
	v_lshlrev_b16_e32 v56, 1, v174
	v_lshlrev_b32_e32 v56, 4, v56
	v_fmac_f64_e32 v[206:207], v[62:63], v[70:71]
	v_fmac_f64_e32 v[210:211], v[58:59], v[66:67]
	global_load_dwordx4 v[58:61], v56, s[10:11] offset:16
	global_load_dwordx4 v[62:65], v56, s[10:11]
	v_accvgpr_write_b32 a217, v73
	v_accvgpr_write_b32 a216, v72
	;; [unrolled: 1-line block ×8, first 2 shown]
	s_waitcnt vmcnt(1) lgkmcnt(3)
	v_mul_f64 v[218:219], v[48:49], v[60:61]
	s_waitcnt vmcnt(0)
	v_mul_f64 v[56:57], v[54:55], v[64:65]
	v_fma_f64 v[212:213], v[52:53], v[62:63], -v[56:57]
	v_mul_f64 v[214:215], v[52:53], v[64:65]
	v_mul_f64 v[52:53], v[50:51], v[60:61]
	v_fma_f64 v[216:217], v[48:49], v[58:59], -v[52:53]
	v_mul_u32_u24_sdwa v48, v175, s6 dst_sel:DWORD dst_unused:UNUSED_PAD src0_sel:WORD_0 src1_sel:DWORD
	v_lshrrev_b32_e32 v168, 17, v48
	v_mul_lo_u16_e32 v48, 3, v168
	v_sub_u16_e32 v169, v175, v48
	v_lshlrev_b16_e32 v48, 1, v169
	v_lshlrev_b32_e32 v48, 4, v48
	v_fmac_f64_e32 v[214:215], v[54:55], v[62:63]
	v_fmac_f64_e32 v[218:219], v[50:51], v[58:59]
	global_load_dwordx4 v[50:53], v48, s[10:11] offset:16
	global_load_dwordx4 v[54:57], v48, s[10:11]
	v_accvgpr_write_b32 a201, v65
	v_accvgpr_write_b32 a200, v64
	;; [unrolled: 1-line block ×8, first 2 shown]
	s_waitcnt lgkmcnt(0)
	s_barrier
	s_waitcnt vmcnt(1)
	v_mul_f64 v[226:227], v[40:41], v[52:53]
	s_waitcnt vmcnt(0)
	v_mul_f64 v[48:49], v[46:47], v[56:57]
	v_fma_f64 v[220:221], v[44:45], v[54:55], -v[48:49]
	v_mul_f64 v[222:223], v[44:45], v[56:57]
	v_mul_f64 v[44:45], v[42:43], v[52:53]
	v_fma_f64 v[224:225], v[40:41], v[50:51], -v[44:45]
	v_add_f64 v[40:41], v[36:37], v[120:121]
	v_add_f64 v[116:117], v[40:41], v[124:125]
	v_add_f64 v[40:41], v[120:121], v[124:125]
	v_fmac_f64_e32 v[36:37], -0.5, v[40:41]
	v_add_f64 v[40:41], v[122:123], -v[112:113]
	v_fma_f64 v[108:109], s[2:3], v[40:41], v[36:37]
	v_fmac_f64_e32 v[36:37], s[4:5], v[40:41]
	v_add_f64 v[40:41], v[38:39], v[122:123]
	v_add_f64 v[118:119], v[40:41], v[112:113]
	v_add_f64 v[40:41], v[122:123], v[112:113]
	v_fmac_f64_e32 v[38:39], -0.5, v[40:41]
	v_add_f64 v[40:41], v[120:121], -v[124:125]
	v_fma_f64 v[110:111], s[4:5], v[40:41], v[38:39]
	v_fmac_f64_e32 v[38:39], s[2:3], v[40:41]
	;; [unrolled: 7-line block ×14, first 2 shown]
	v_add_f64 v[40:41], v[8:9], v[204:205]
	v_add_f64 v[60:61], v[40:41], v[208:209]
	;; [unrolled: 1-line block ×3, first 2 shown]
	v_accvgpr_write_b32 a209, v57
	v_fmac_f64_e32 v[8:9], -0.5, v[40:41]
	v_add_f64 v[40:41], v[206:207], -v[210:211]
	v_accvgpr_write_b32 a208, v56
	v_accvgpr_write_b32 a207, v55
	;; [unrolled: 1-line block ×3, first 2 shown]
	v_fma_f64 v[56:57], s[2:3], v[40:41], v[8:9]
	v_fmac_f64_e32 v[8:9], s[4:5], v[40:41]
	v_add_f64 v[40:41], v[10:11], v[206:207]
	v_add_f64 v[62:63], v[40:41], v[210:211]
	;; [unrolled: 1-line block ×3, first 2 shown]
	v_fmac_f64_e32 v[10:11], -0.5, v[40:41]
	v_add_f64 v[40:41], v[204:205], -v[208:209]
	v_accvgpr_write_b32 a213, v53
	v_fma_f64 v[58:59], s[4:5], v[40:41], v[10:11]
	v_fmac_f64_e32 v[10:11], s[2:3], v[40:41]
	v_add_f64 v[40:41], v[4:5], v[212:213]
	v_accvgpr_write_b32 a212, v52
	v_accvgpr_write_b32 a211, v51
	;; [unrolled: 1-line block ×3, first 2 shown]
	v_add_f64 v[52:53], v[40:41], v[216:217]
	v_add_f64 v[40:41], v[212:213], v[216:217]
	v_fmac_f64_e32 v[4:5], -0.5, v[40:41]
	v_add_f64 v[40:41], v[214:215], -v[218:219]
	v_fma_f64 v[48:49], s[2:3], v[40:41], v[4:5]
	v_fmac_f64_e32 v[4:5], s[4:5], v[40:41]
	v_add_f64 v[40:41], v[6:7], v[214:215]
	v_fmac_f64_e32 v[222:223], v[46:47], v[54:55]
	v_add_f64 v[54:55], v[40:41], v[218:219]
	v_add_f64 v[40:41], v[214:215], v[218:219]
	v_fmac_f64_e32 v[6:7], -0.5, v[40:41]
	v_add_f64 v[40:41], v[212:213], -v[216:217]
	v_fmac_f64_e32 v[226:227], v[42:43], v[50:51]
	v_fma_f64 v[50:51], s[4:5], v[40:41], v[6:7]
	v_fmac_f64_e32 v[6:7], s[2:3], v[40:41]
	v_add_f64 v[40:41], v[0:1], v[220:221]
	v_add_f64 v[44:45], v[40:41], v[224:225]
	;; [unrolled: 1-line block ×3, first 2 shown]
	v_fmac_f64_e32 v[0:1], -0.5, v[40:41]
	v_add_f64 v[42:43], v[222:223], -v[226:227]
	v_fma_f64 v[40:41], s[2:3], v[42:43], v[0:1]
	v_fmac_f64_e32 v[0:1], s[4:5], v[42:43]
	v_add_f64 v[42:43], v[2:3], v[222:223]
	v_add_f64 v[46:47], v[42:43], v[226:227]
	;; [unrolled: 1-line block ×3, first 2 shown]
	v_fmac_f64_e32 v[2:3], -0.5, v[42:43]
	v_add_f64 v[120:121], v[220:221], -v[224:225]
	v_fma_f64 v[42:43], s[4:5], v[120:121], v[2:3]
	v_fmac_f64_e32 v[2:3], s[2:3], v[120:121]
	v_mul_u32_u24_e32 v120, 9, v182
	v_add_lshl_u32 v120, v120, v183, 4
	buffer_store_dword v120, off, s[36:39], 0 offset:24 ; 4-byte Folded Spill
	ds_write_b128 v120, v[116:119]
	ds_write_b128 v120, v[108:111] offset:48
	ds_write_b128 v120, v[36:39] offset:96
	v_mul_u32_u24_e32 v36, 9, v176
	v_add_lshl_u32 v36, v36, v177, 4
	ds_write_b128 v36, v[112:115]
	buffer_store_dword v36, off, s[36:39], 0 offset:60 ; 4-byte Folded Spill
	ds_write_b128 v36, v[104:107] offset:48
	ds_write_b128 v36, v[32:35] offset:96
	v_mad_legacy_u16 v32, v178, 9, v179
	v_lshlrev_b32_e32 v32, 4, v32
	ds_write_b128 v32, v[100:103]
	buffer_store_dword v32, off, s[36:39], 0 offset:64 ; 4-byte Folded Spill
	ds_write_b128 v32, v[96:99] offset:48
	ds_write_b128 v32, v[28:31] offset:96
	v_mad_legacy_u16 v28, v180, 9, v181
	v_lshlrev_b32_e32 v28, 4, v28
	;; [unrolled: 6-line block ×4, first 2 shown]
	ds_write_b128 v20, v[76:79]
	ds_write_b128 v20, v[72:75] offset:48
	ds_write_b128 v20, v[16:19] offset:96
	v_mad_legacy_u16 v16, v189, 9, v191
	v_lshlrev_b32_e32 v16, 4, v16
	v_mov_b32_e32 v164, 57
	ds_write_b128 v16, v[68:71]
	buffer_store_dword v16, off, s[36:39], 0 offset:68 ; 4-byte Folded Spill
	ds_write_b128 v16, v[64:67] offset:48
	ds_write_b128 v16, v[12:15] offset:96
	v_mad_legacy_u16 v12, v187, 9, v188
	v_mul_lo_u16_sdwa v120, v193, v164 dst_sel:DWORD dst_unused:UNUSED_PAD src0_sel:BYTE_0 src1_sel:DWORD
	v_lshlrev_b32_e32 v12, 4, v12
	v_lshrrev_b16_e32 v162, 9, v120
	ds_write_b128 v12, v[60:63]
	buffer_store_dword v12, off, s[36:39], 0 offset:52 ; 4-byte Folded Spill
	ds_write_b128 v12, v[56:59] offset:48
	ds_write_b128 v12, v[8:11] offset:96
	v_mad_legacy_u16 v8, v186, 9, v174
	v_mul_lo_u16_e32 v120, 9, v162
	v_lshlrev_b32_e32 v8, 4, v8
	v_sub_u16_e32 v120, v193, v120
	ds_write_b128 v8, v[52:55]
	ds_write_b128 v8, v[48:51] offset:48
	ds_write_b128 v8, v[4:7] offset:96
	v_mad_legacy_u16 v4, v168, 9, v169
	v_and_b32_e32 v163, 0xff, v120
	v_pk_mov_b32 v[120:121], s[10:11], s[10:11] op_sel:[0,1]
	v_lshlrev_b32_e32 v4, 4, v4
	v_mad_u64_u32 v[122:123], s[6:7], v163, s8, v[120:121]
	v_accvgpr_write_b32 a223, v20
	buffer_store_dword v8, off, s[36:39], 0 offset:72 ; 4-byte Folded Spill
	buffer_store_dword v4, off, s[36:39], 0 offset:56 ; 4-byte Folded Spill
	ds_write_b128 v4, v[44:47]
	ds_write_b128 v4, v[40:43] offset:48
	ds_write_b128 v4, v[0:3] offset:96
	s_waitcnt lgkmcnt(0)
	s_barrier
	ds_read_b128 v[40:43], v197
	ds_read_b128 v[116:119], v197 offset:5184
	ds_read_b128 v[112:115], v197 offset:10368
	;; [unrolled: 1-line block ×29, first 2 shown]
	global_load_dwordx4 v[134:137], v[122:123], off offset:144
	global_load_dwordx4 v[130:133], v[122:123], off offset:128
	global_load_dwordx4 v[138:141], v[122:123], off offset:112
	global_load_dwordx4 v[142:145], v[122:123], off offset:96
	v_mov_b32_e32 v174, s11
	s_movk_i32 s11, 0x5a
	s_waitcnt vmcnt(3) lgkmcnt(14)
	v_mul_f64 v[148:149], v[104:105], v[136:137]
	v_accvgpr_write_b32 a239, v137
	s_waitcnt vmcnt(1)
	v_mul_f64 v[146:147], v[112:113], v[140:141]
	s_waitcnt vmcnt(0)
	v_mul_f64 v[124:125], v[118:119], v[144:145]
	v_fma_f64 v[126:127], v[116:117], v[142:143], -v[124:125]
	v_mul_f64 v[128:129], v[116:117], v[144:145]
	v_mul_f64 v[116:117], v[114:115], v[140:141]
	v_fma_f64 v[150:151], v[112:113], v[138:139], -v[116:117]
	v_fmac_f64_e32 v[146:147], v[114:115], v[138:139]
	v_pk_mov_b32 v[114:115], v[130:131], v[130:131] op_sel:[0,1]
	v_pk_mov_b32 v[116:117], v[132:133], v[132:133] op_sel:[0,1]
	v_mul_f64 v[112:113], v[110:111], v[116:117]
	v_fma_f64 v[132:133], v[108:109], v[114:115], -v[112:113]
	v_mul_f64 v[130:131], v[108:109], v[116:117]
	v_accvgpr_write_b32 a235, v117
	v_mul_f64 v[108:109], v[106:107], v[136:137]
	v_fmac_f64_e32 v[130:131], v[110:111], v[114:115]
	v_accvgpr_write_b32 a234, v116
	v_accvgpr_write_b32 a233, v115
	;; [unrolled: 1-line block ×3, first 2 shown]
	v_fma_f64 v[152:153], v[104:105], v[134:135], -v[108:109]
	v_fmac_f64_e32 v[148:149], v[106:107], v[134:135]
	v_accvgpr_write_b32 a238, v136
	v_accvgpr_write_b32 a237, v135
	;; [unrolled: 1-line block ×3, first 2 shown]
	global_load_dwordx4 v[106:109], v[122:123], off offset:208
	global_load_dwordx4 v[110:113], v[122:123], off offset:192
	;; [unrolled: 1-line block ×5, first 2 shown]
	v_accvgpr_write_b32 a231, v141
	v_accvgpr_write_b32 a230, v140
	;; [unrolled: 1-line block ×5, first 2 shown]
	v_fmac_f64_e32 v[128:129], v[118:119], v[142:143]
	v_accvgpr_write_b32 a226, v144
	v_accvgpr_write_b32 a225, v143
	;; [unrolled: 1-line block ×3, first 2 shown]
	s_waitcnt vmcnt(4)
	v_mul_f64 v[156:157], v[88:89], v[108:109]
	v_fmac_f64_e32 v[156:157], v[90:91], v[106:107]
	s_waitcnt vmcnt(2)
	v_mul_f64 v[154:155], v[96:97], v[116:117]
	s_waitcnt vmcnt(1)
	v_mul_f64 v[104:105], v[102:103], v[136:137]
	v_pk_mov_b32 v[138:139], v[136:137], v[136:137] op_sel:[0,1]
	v_fma_f64 v[140:141], v[100:101], v[134:135], -v[104:105]
	v_pk_mov_b32 v[136:137], v[134:135], v[134:135] op_sel:[0,1]
	v_mul_f64 v[134:135], v[100:101], v[138:139]
	v_mul_f64 v[100:101], v[98:99], v[116:117]
	v_accvgpr_write_b32 a243, v139
	v_fma_f64 v[158:159], v[96:97], v[114:115], -v[100:101]
	v_mul_f64 v[96:97], v[94:95], v[112:113]
	v_fmac_f64_e32 v[134:135], v[102:103], v[136:137]
	v_accvgpr_write_b32 a242, v138
	v_accvgpr_write_b32 a241, v137
	;; [unrolled: 1-line block ×3, first 2 shown]
	v_fma_f64 v[142:143], v[92:93], v[110:111], -v[96:97]
	v_mul_f64 v[136:137], v[92:93], v[112:113]
	v_mul_f64 v[92:93], v[90:91], v[108:109]
	v_fma_f64 v[160:161], v[88:89], v[106:107], -v[92:93]
	s_waitcnt vmcnt(0)
	v_mul_f64 v[88:89], v[86:87], v[226:227]
	v_fma_f64 v[144:145], v[84:85], v[224:225], -v[88:89]
	v_mul_f64 v[138:139], v[84:85], v[226:227]
	v_mul_lo_u16_sdwa v84, v170, v164 dst_sel:DWORD dst_unused:UNUSED_PAD src0_sel:BYTE_0 src1_sel:DWORD
	v_lshrrev_b16_e32 v165, 9, v84
	v_mul_lo_u16_e32 v84, 9, v165
	v_sub_u16_e32 v84, v170, v84
	v_and_b32_e32 v169, 0xff, v84
	v_mad_u64_u32 v[84:85], s[6:7], v169, s8, v[120:121]
	v_fmac_f64_e32 v[136:137], v[94:95], v[110:111]
	global_load_dwordx4 v[88:91], v[84:85], off offset:144
	global_load_dwordx4 v[92:95], v[84:85], off offset:128
	;; [unrolled: 1-line block ×4, first 2 shown]
	v_fmac_f64_e32 v[138:139], v[86:87], v[224:225]
	s_mov_b32 s6, 0xe38f
	v_fmac_f64_e32 v[154:155], v[98:99], v[114:115]
	v_accvgpr_write_b32 a155, v113
	v_accvgpr_write_b32 a154, v112
	;; [unrolled: 1-line block ×12, first 2 shown]
	s_mov_b32 s8, 0x134454ff
	s_mov_b32 s9, 0x3fee6f0e
	;; [unrolled: 1-line block ×3, first 2 shown]
	s_waitcnt vmcnt(3)
	v_accvgpr_write_b32 a159, v91
	s_waitcnt vmcnt(2)
	v_accvgpr_write_b32 a151, v95
	v_accvgpr_write_b32 a150, v94
	s_waitcnt vmcnt(0)
	v_mul_f64 v[86:87], v[82:83], v[214:215]
	v_fma_f64 v[122:123], v[80:81], v[212:213], -v[86:87]
	v_mul_f64 v[80:81], v[80:81], v[214:215]
	v_fmac_f64_e32 v[80:81], v[82:83], v[212:213]
	v_mul_f64 v[82:83], v[78:79], v[234:235]
	v_fma_f64 v[124:125], v[76:77], v[232:233], -v[82:83]
	v_mul_f64 v[82:83], v[76:77], v[234:235]
	v_mul_f64 v[76:77], v[74:75], v[94:95]
	v_fma_f64 v[76:77], v[72:73], v[92:93], -v[76:77]
	v_mul_f64 v[72:73], v[72:73], v[94:95]
	v_fmac_f64_e32 v[72:73], v[74:75], v[92:93]
	v_mul_f64 v[74:75], v[70:71], v[90:91]
	v_fmac_f64_e32 v[82:83], v[78:79], v[232:233]
	v_fma_f64 v[78:79], v[68:69], v[88:89], -v[74:75]
	v_mul_f64 v[74:75], v[68:69], v[90:91]
	v_accvgpr_write_b32 a149, v93
	v_accvgpr_write_b32 a148, v92
	v_fmac_f64_e32 v[74:75], v[70:71], v[88:89]
	v_accvgpr_write_b32 a158, v90
	v_accvgpr_write_b32 a157, v89
	;; [unrolled: 1-line block ×3, first 2 shown]
	global_load_dwordx4 v[86:89], v[84:85], off offset:208
	global_load_dwordx4 v[90:93], v[84:85], off offset:192
	;; [unrolled: 1-line block ×4, first 2 shown]
	s_waitcnt vmcnt(3)
	v_accvgpr_write_b32 a255, v89
	v_accvgpr_write_b32 a254, v88
	;; [unrolled: 1-line block ×3, first 2 shown]
	s_waitcnt vmcnt(0)
	v_mul_f64 v[68:69], v[66:67], v[218:219]
	v_fma_f64 v[68:69], v[64:65], v[216:217], -v[68:69]
	v_mul_f64 v[64:65], v[64:65], v[218:219]
	v_fmac_f64_e32 v[64:65], v[66:67], v[216:217]
	s_waitcnt lgkmcnt(13)
	v_mul_f64 v[66:67], v[62:63], v[96:97]
	v_fma_f64 v[70:71], v[60:61], v[94:95], -v[66:67]
	v_mul_f64 v[66:67], v[60:61], v[96:97]
	s_waitcnt lgkmcnt(12)
	v_mul_f64 v[60:61], v[58:59], v[92:93]
	v_fma_f64 v[60:61], v[56:57], v[90:91], -v[60:61]
	v_mul_f64 v[56:57], v[56:57], v[92:93]
	v_fmac_f64_e32 v[56:57], v[58:59], v[90:91]
	s_waitcnt lgkmcnt(11)
	v_mul_f64 v[58:59], v[54:55], v[88:89]
	v_fmac_f64_e32 v[66:67], v[62:63], v[94:95]
	v_fma_f64 v[62:63], v[52:53], v[86:87], -v[58:59]
	v_mul_f64 v[58:59], v[52:53], v[88:89]
	v_fmac_f64_e32 v[58:59], v[54:55], v[86:87]
	v_accvgpr_write_b32 a252, v86
	global_load_dwordx4 v[84:87], v[84:85], off offset:224
	v_accvgpr_write_b32 a179, v93
	v_accvgpr_write_b32 a178, v92
	;; [unrolled: 1-line block ×8, first 2 shown]
	s_waitcnt vmcnt(0) lgkmcnt(10)
	v_mul_f64 v[52:53], v[50:51], v[86:87]
	v_fma_f64 v[52:53], v[48:49], v[84:85], -v[52:53]
	v_mul_f64 v[48:49], v[48:49], v[86:87]
	v_fmac_f64_e32 v[48:49], v[50:51], v[84:85]
	v_mul_u32_u24_sdwa v50, v171, s6 dst_sel:DWORD dst_unused:UNUSED_PAD src0_sel:WORD_0 src1_sel:DWORD
	v_lshrrev_b32_e32 v164, 19, v50
	v_mul_lo_u16_e32 v50, 9, v164
	v_sub_u16_e32 v168, v171, v50
	v_mul_lo_u16_e32 v50, 0x90, v168
	v_add_co_u32_e32 v50, vcc, s10, v50
	v_accvgpr_write_b32 a251, v87
	v_addc_co_u32_e32 v51, vcc, 0, v174, vcc
	v_accvgpr_write_b32 a250, v86
	v_accvgpr_write_b32 a249, v85
	;; [unrolled: 1-line block ×3, first 2 shown]
	global_load_dwordx4 v[86:89], v[50:51], off offset:144
	global_load_dwordx4 v[90:93], v[50:51], off offset:128
	;; [unrolled: 1-line block ×4, first 2 shown]
	s_mov_b32 s6, 0x4755a5e
	s_mov_b32 s7, 0x3fe2cf23
	s_mov_b32 s16, s6
	v_cmp_gt_u16_e32 vcc, s11, v193
	s_waitcnt vmcnt(3) lgkmcnt(5)
	v_mul_f64 v[106:107], v[28:29], v[88:89]
	v_fmac_f64_e32 v[106:107], v[30:31], v[86:87]
	s_waitcnt vmcnt(1)
	v_mul_f64 v[104:105], v[36:37], v[246:247]
	s_waitcnt vmcnt(0)
	v_mul_f64 v[54:55], v[46:47], v[222:223]
	v_fma_f64 v[98:99], v[44:45], v[220:221], -v[54:55]
	v_mul_f64 v[102:103], v[44:45], v[222:223]
	v_mul_f64 v[44:45], v[38:39], v[246:247]
	v_fmac_f64_e32 v[102:103], v[46:47], v[220:221]
	v_fma_f64 v[112:113], v[36:37], v[244:245], -v[44:45]
	v_pk_mov_b32 v[44:45], v[90:91], v[90:91] op_sel:[0,1]
	v_pk_mov_b32 v[46:47], v[92:93], v[92:93] op_sel:[0,1]
	v_mul_f64 v[36:37], v[34:35], v[46:47]
	v_fma_f64 v[92:93], v[32:33], v[44:45], -v[36:37]
	v_mul_f64 v[84:85], v[32:33], v[46:47]
	v_accvgpr_write_b32 a171, v47
	v_mul_f64 v[32:33], v[30:31], v[88:89]
	v_fmac_f64_e32 v[84:85], v[34:35], v[44:45]
	v_accvgpr_write_b32 a170, v46
	v_accvgpr_write_b32 a169, v45
	;; [unrolled: 1-line block ×3, first 2 shown]
	v_fma_f64 v[114:115], v[28:29], v[86:87], -v[32:33]
	global_load_dwordx4 v[30:33], v[50:51], off offset:208
	global_load_dwordx4 v[34:37], v[50:51], off offset:192
	;; [unrolled: 1-line block ×4, first 2 shown]
	v_accvgpr_write_b32 a175, v89
	v_accvgpr_write_b32 a174, v88
	v_accvgpr_write_b32 a173, v87
	v_accvgpr_write_b32 a172, v86
	v_fmac_f64_e32 v[104:105], v[38:39], v[244:245]
	s_waitcnt vmcnt(3) lgkmcnt(1)
	v_mul_f64 v[110:111], v[12:13], v[32:33]
	s_waitcnt vmcnt(2)
	v_mul_f64 v[88:89], v[16:17], v[36:37]
	s_waitcnt vmcnt(1)
	;; [unrolled: 2-line block ×3, first 2 shown]
	v_mul_f64 v[28:29], v[26:27], v[238:239]
	v_fma_f64 v[94:95], v[24:25], v[236:237], -v[28:29]
	v_mul_f64 v[86:87], v[24:25], v[238:239]
	v_mul_f64 v[24:25], v[22:23], v[46:47]
	v_fma_f64 v[116:117], v[20:21], v[44:45], -v[24:25]
	v_mul_f64 v[20:21], v[18:19], v[36:37]
	v_fma_f64 v[96:97], v[16:17], v[34:35], -v[20:21]
	;; [unrolled: 2-line block ×3, first 2 shown]
	v_fmac_f64_e32 v[110:111], v[14:15], v[30:31]
	global_load_dwordx4 v[14:17], v[50:51], off offset:224
	v_accvgpr_write_b32 a193, v33
	v_accvgpr_write_b32 a192, v32
	;; [unrolled: 1-line block ×5, first 2 shown]
	v_fmac_f64_e32 v[88:89], v[18:19], v[34:35]
	v_accvgpr_write_b32 a186, v36
	v_accvgpr_write_b32 a185, v35
	;; [unrolled: 1-line block ×7, first 2 shown]
	v_fmac_f64_e32 v[108:109], v[22:23], v[44:45]
	v_fmac_f64_e32 v[86:87], v[26:27], v[236:237]
	v_add_f64 v[18:19], v[138:139], -v[136:137]
	s_waitcnt lgkmcnt(0)
	s_barrier
	s_waitcnt vmcnt(0)
	v_mul_f64 v[12:13], v[10:11], v[16:17]
	v_fma_f64 v[100:101], v[8:9], v[14:15], -v[12:13]
	v_mul_f64 v[90:91], v[8:9], v[16:17]
	v_add_f64 v[8:9], v[40:41], v[150:151]
	v_add_f64 v[8:9], v[8:9], v[152:153]
	;; [unrolled: 1-line block ×5, first 2 shown]
	v_accvgpr_write_b32 a247, v17
	v_fma_f64 v[30:31], -0.5, v[8:9], v[40:41]
	v_add_f64 v[8:9], v[146:147], -v[156:157]
	v_fmac_f64_e32 v[90:91], v[10:11], v[14:15]
	v_accvgpr_write_b32 a246, v16
	v_accvgpr_write_b32 a245, v15
	;; [unrolled: 1-line block ×3, first 2 shown]
	v_fma_f64 v[32:33], s[8:9], v[8:9], v[30:31]
	v_add_f64 v[10:11], v[148:149], -v[154:155]
	v_add_f64 v[12:13], v[150:151], -v[152:153]
	v_add_f64 v[14:15], v[160:161], -v[158:159]
	v_fmac_f64_e32 v[30:31], s[18:19], v[8:9]
	v_fmac_f64_e32 v[32:33], s[6:7], v[10:11]
	v_add_f64 v[12:13], v[12:13], v[14:15]
	v_fmac_f64_e32 v[30:31], s[16:17], v[10:11]
	v_fmac_f64_e32 v[32:33], s[14:15], v[12:13]
	v_fmac_f64_e32 v[30:31], s[14:15], v[12:13]
	v_add_f64 v[12:13], v[150:151], v[160:161]
	v_fmac_f64_e32 v[40:41], -0.5, v[12:13]
	v_fma_f64 v[38:39], s[18:19], v[10:11], v[40:41]
	v_fmac_f64_e32 v[40:41], s[8:9], v[10:11]
	v_fmac_f64_e32 v[38:39], s[6:7], v[8:9]
	v_fmac_f64_e32 v[40:41], s[16:17], v[8:9]
	v_add_f64 v[8:9], v[42:43], v[146:147]
	v_add_f64 v[8:9], v[8:9], v[148:149]
	v_add_f64 v[8:9], v[8:9], v[154:155]
	v_add_f64 v[12:13], v[152:153], -v[150:151]
	v_add_f64 v[14:15], v[158:159], -v[160:161]
	v_add_f64 v[34:35], v[8:9], v[156:157]
	v_add_f64 v[8:9], v[148:149], v[154:155]
	v_add_f64 v[12:13], v[12:13], v[14:15]
	v_fma_f64 v[50:51], -0.5, v[8:9], v[42:43]
	v_add_f64 v[8:9], v[150:151], -v[160:161]
	v_fmac_f64_e32 v[38:39], s[14:15], v[12:13]
	v_fmac_f64_e32 v[40:41], s[14:15], v[12:13]
	v_fma_f64 v[46:47], s[18:19], v[8:9], v[50:51]
	v_add_f64 v[10:11], v[152:153], -v[158:159]
	v_add_f64 v[12:13], v[146:147], -v[148:149]
	v_add_f64 v[14:15], v[156:157], -v[154:155]
	v_fmac_f64_e32 v[50:51], s[8:9], v[8:9]
	v_fmac_f64_e32 v[46:47], s[16:17], v[10:11]
	v_add_f64 v[12:13], v[12:13], v[14:15]
	v_fmac_f64_e32 v[50:51], s[6:7], v[10:11]
	v_fmac_f64_e32 v[46:47], s[14:15], v[12:13]
	v_fmac_f64_e32 v[50:51], s[14:15], v[12:13]
	v_add_f64 v[12:13], v[146:147], v[156:157]
	v_fmac_f64_e32 v[42:43], -0.5, v[12:13]
	v_fma_f64 v[54:55], s[8:9], v[10:11], v[42:43]
	v_fmac_f64_e32 v[42:43], s[18:19], v[10:11]
	v_fmac_f64_e32 v[54:55], s[16:17], v[8:9]
	v_fmac_f64_e32 v[42:43], s[6:7], v[8:9]
	v_add_f64 v[8:9], v[126:127], v[132:133]
	v_add_f64 v[8:9], v[8:9], v[140:141]
	v_add_f64 v[8:9], v[8:9], v[142:143]
	v_add_f64 v[12:13], v[148:149], -v[146:147]
	v_add_f64 v[14:15], v[154:155], -v[156:157]
	v_add_f64 v[36:37], v[8:9], v[144:145]
	v_add_f64 v[8:9], v[140:141], v[142:143]
	v_add_f64 v[12:13], v[12:13], v[14:15]
	v_fma_f64 v[22:23], -0.5, v[8:9], v[126:127]
	v_add_f64 v[8:9], v[130:131], -v[138:139]
	v_fmac_f64_e32 v[54:55], s[14:15], v[12:13]
	v_fmac_f64_e32 v[42:43], s[14:15], v[12:13]
	;; [unrolled: 28-line block ×3, first 2 shown]
	v_fma_f64 v[14:15], s[18:19], v[8:9], v[44:45]
	v_add_f64 v[12:13], v[140:141], -v[142:143]
	v_add_f64 v[16:17], v[130:131], -v[134:135]
	v_fmac_f64_e32 v[44:45], s[8:9], v[8:9]
	v_fmac_f64_e32 v[14:15], s[16:17], v[12:13]
	v_add_f64 v[16:17], v[16:17], v[18:19]
	v_fmac_f64_e32 v[44:45], s[6:7], v[12:13]
	v_fmac_f64_e32 v[14:15], s[14:15], v[16:17]
	;; [unrolled: 1-line block ×3, first 2 shown]
	v_add_f64 v[16:17], v[130:131], v[138:139]
	v_fmac_f64_e32 v[128:129], -0.5, v[16:17]
	v_fma_f64 v[132:133], s[8:9], v[12:13], v[128:129]
	v_add_f64 v[16:17], v[134:135], -v[130:131]
	v_add_f64 v[18:19], v[136:137], -v[138:139]
	v_fmac_f64_e32 v[128:129], s[18:19], v[12:13]
	v_add_f64 v[16:17], v[16:17], v[18:19]
	v_fmac_f64_e32 v[128:129], s[6:7], v[8:9]
	v_fmac_f64_e32 v[132:133], s[16:17], v[8:9]
	;; [unrolled: 1-line block ×3, first 2 shown]
	v_mul_f64 v[136:137], v[126:127], s[22:23]
	v_fmac_f64_e32 v[132:133], s[14:15], v[16:17]
	v_fmac_f64_e32 v[136:137], s[8:9], v[128:129]
	v_mul_f64 v[128:129], v[128:129], s[22:23]
	v_mul_f64 v[134:135], v[132:133], s[8:9]
	;; [unrolled: 1-line block ×3, first 2 shown]
	v_fmac_f64_e32 v[128:129], s[18:19], v[126:127]
	v_mul_f64 v[126:127], v[44:45], s[20:21]
	v_fmac_f64_e32 v[134:135], s[14:15], v[26:27]
	v_fmac_f64_e32 v[140:141], s[24:25], v[14:15]
	;; [unrolled: 1-line block ×3, first 2 shown]
	v_add_f64 v[16:17], v[28:29], v[36:37]
	v_mul_f64 v[130:131], v[14:15], s[6:7]
	v_add_f64 v[8:9], v[38:39], v[134:135]
	v_mul_f64 v[138:139], v[22:23], s[20:21]
	v_add_f64 v[18:19], v[34:35], v[146:147]
	v_add_f64 v[14:15], v[46:47], v[140:141]
	v_mul_f64 v[142:143], v[26:27], s[18:19]
	v_add_f64 v[26:27], v[42:43], v[128:129]
	v_add_f64 v[22:23], v[50:51], v[126:127]
	v_add_f64 v[36:37], v[28:29], -v[36:37]
	v_add_f64 v[28:29], v[38:39], -v[134:135]
	v_add_f64 v[38:39], v[34:35], -v[146:147]
	v_add_f64 v[34:35], v[46:47], -v[140:141]
	v_add_f64 v[46:47], v[42:43], -v[128:129]
	v_add_f64 v[42:43], v[50:51], -v[126:127]
	v_add_f64 v[50:51], v[4:5], v[124:125]
	v_add_f64 v[50:51], v[50:51], v[78:79]
	;; [unrolled: 1-line block ×5, first 2 shown]
	v_fmac_f64_e32 v[130:131], s[24:25], v[10:11]
	v_fmac_f64_e32 v[138:139], s[6:7], v[44:45]
	;; [unrolled: 1-line block ×3, first 2 shown]
	v_fma_f64 v[128:129], -0.5, v[50:51], v[4:5]
	v_add_f64 v[50:51], v[82:83], -v[58:59]
	v_add_f64 v[12:13], v[32:33], v[130:131]
	v_add_f64 v[24:25], v[40:41], v[136:137]
	;; [unrolled: 1-line block ×4, first 2 shown]
	v_add_f64 v[32:33], v[32:33], -v[130:131]
	v_add_f64 v[44:45], v[40:41], -v[136:137]
	;; [unrolled: 1-line block ×4, first 2 shown]
	v_fma_f64 v[130:131], s[8:9], v[50:51], v[128:129]
	v_add_f64 v[54:55], v[74:75], -v[66:67]
	v_add_f64 v[132:133], v[124:125], -v[78:79]
	v_add_f64 v[134:135], v[62:63], -v[70:71]
	v_fmac_f64_e32 v[128:129], s[18:19], v[50:51]
	v_fmac_f64_e32 v[130:131], s[6:7], v[54:55]
	v_add_f64 v[132:133], v[132:133], v[134:135]
	v_fmac_f64_e32 v[128:129], s[16:17], v[54:55]
	v_fmac_f64_e32 v[130:131], s[14:15], v[132:133]
	;; [unrolled: 1-line block ×3, first 2 shown]
	v_add_f64 v[132:133], v[124:125], v[62:63]
	v_fmac_f64_e32 v[4:5], -0.5, v[132:133]
	v_fma_f64 v[136:137], s[18:19], v[54:55], v[4:5]
	v_fmac_f64_e32 v[4:5], s[8:9], v[54:55]
	v_fmac_f64_e32 v[136:137], s[6:7], v[50:51]
	;; [unrolled: 1-line block ×3, first 2 shown]
	v_add_f64 v[50:51], v[6:7], v[82:83]
	v_add_f64 v[132:133], v[78:79], -v[124:125]
	v_add_f64 v[134:135], v[70:71], -v[62:63]
	v_add_f64 v[50:51], v[50:51], v[74:75]
	v_add_f64 v[132:133], v[132:133], v[134:135]
	;; [unrolled: 1-line block ×3, first 2 shown]
	v_fmac_f64_e32 v[136:137], s[14:15], v[132:133]
	v_fmac_f64_e32 v[4:5], s[14:15], v[132:133]
	v_add_f64 v[132:133], v[50:51], v[58:59]
	v_add_f64 v[50:51], v[74:75], v[66:67]
	v_fma_f64 v[134:135], -0.5, v[50:51], v[6:7]
	v_add_f64 v[50:51], v[124:125], -v[62:63]
	v_fma_f64 v[124:125], s[18:19], v[50:51], v[134:135]
	v_add_f64 v[54:55], v[78:79], -v[70:71]
	v_add_f64 v[62:63], v[82:83], -v[74:75]
	v_add_f64 v[70:71], v[58:59], -v[66:67]
	v_fmac_f64_e32 v[134:135], s[8:9], v[50:51]
	v_fmac_f64_e32 v[124:125], s[16:17], v[54:55]
	v_add_f64 v[62:63], v[62:63], v[70:71]
	v_fmac_f64_e32 v[134:135], s[6:7], v[54:55]
	v_fmac_f64_e32 v[124:125], s[14:15], v[62:63]
	;; [unrolled: 1-line block ×3, first 2 shown]
	v_add_f64 v[62:63], v[82:83], v[58:59]
	v_fmac_f64_e32 v[6:7], -0.5, v[62:63]
	v_fma_f64 v[70:71], s[8:9], v[54:55], v[6:7]
	v_fmac_f64_e32 v[6:7], s[18:19], v[54:55]
	v_fmac_f64_e32 v[70:71], s[16:17], v[50:51]
	;; [unrolled: 1-line block ×3, first 2 shown]
	v_add_f64 v[50:51], v[122:123], v[76:77]
	v_add_f64 v[50:51], v[50:51], v[68:69]
	;; [unrolled: 1-line block ×3, first 2 shown]
	v_add_f64 v[62:63], v[74:75], -v[82:83]
	v_add_f64 v[58:59], v[66:67], -v[58:59]
	v_add_f64 v[74:75], v[50:51], v[52:53]
	v_add_f64 v[50:51], v[68:69], v[60:61]
	;; [unrolled: 1-line block ×3, first 2 shown]
	v_fma_f64 v[62:63], -0.5, v[50:51], v[122:123]
	v_add_f64 v[50:51], v[72:73], -v[48:49]
	v_fmac_f64_e32 v[70:71], s[14:15], v[58:59]
	v_fmac_f64_e32 v[6:7], s[14:15], v[58:59]
	v_fma_f64 v[54:55], s[8:9], v[50:51], v[62:63]
	v_add_f64 v[58:59], v[64:65], -v[56:57]
	v_add_f64 v[66:67], v[76:77], -v[68:69]
	;; [unrolled: 1-line block ×3, first 2 shown]
	v_fmac_f64_e32 v[62:63], s[18:19], v[50:51]
	v_fmac_f64_e32 v[54:55], s[6:7], v[58:59]
	v_add_f64 v[66:67], v[66:67], v[78:79]
	v_fmac_f64_e32 v[62:63], s[16:17], v[58:59]
	v_fmac_f64_e32 v[54:55], s[14:15], v[66:67]
	v_fmac_f64_e32 v[62:63], s[14:15], v[66:67]
	v_add_f64 v[66:67], v[76:77], v[52:53]
	v_fmac_f64_e32 v[122:123], -0.5, v[66:67]
	v_fma_f64 v[66:67], s[18:19], v[58:59], v[122:123]
	v_fmac_f64_e32 v[122:123], s[8:9], v[58:59]
	v_fmac_f64_e32 v[66:67], s[6:7], v[50:51]
	;; [unrolled: 1-line block ×3, first 2 shown]
	v_add_f64 v[50:51], v[80:81], v[72:73]
	v_add_f64 v[78:79], v[68:69], -v[76:77]
	v_add_f64 v[82:83], v[60:61], -v[52:53]
	v_add_f64 v[50:51], v[50:51], v[64:65]
	v_add_f64 v[78:79], v[78:79], v[82:83]
	;; [unrolled: 1-line block ×3, first 2 shown]
	v_fmac_f64_e32 v[66:67], s[14:15], v[78:79]
	v_fmac_f64_e32 v[122:123], s[14:15], v[78:79]
	v_add_f64 v[78:79], v[50:51], v[48:49]
	v_add_f64 v[50:51], v[64:65], v[56:57]
	v_fma_f64 v[82:83], -0.5, v[50:51], v[80:81]
	v_add_f64 v[50:51], v[76:77], -v[52:53]
	v_fma_f64 v[76:77], s[18:19], v[50:51], v[82:83]
	v_add_f64 v[52:53], v[68:69], -v[60:61]
	v_add_f64 v[58:59], v[72:73], -v[64:65]
	v_add_f64 v[60:61], v[48:49], -v[56:57]
	v_fmac_f64_e32 v[82:83], s[8:9], v[50:51]
	v_fmac_f64_e32 v[76:77], s[16:17], v[52:53]
	v_add_f64 v[58:59], v[58:59], v[60:61]
	v_fmac_f64_e32 v[82:83], s[6:7], v[52:53]
	v_fmac_f64_e32 v[76:77], s[14:15], v[58:59]
	;; [unrolled: 1-line block ×3, first 2 shown]
	v_add_f64 v[58:59], v[72:73], v[48:49]
	v_fmac_f64_e32 v[80:81], -0.5, v[58:59]
	v_fma_f64 v[68:69], s[8:9], v[52:53], v[80:81]
	v_add_f64 v[58:59], v[64:65], -v[72:73]
	v_add_f64 v[48:49], v[56:57], -v[48:49]
	v_fmac_f64_e32 v[80:81], s[18:19], v[52:53]
	v_add_f64 v[48:49], v[58:59], v[48:49]
	v_fmac_f64_e32 v[80:81], s[6:7], v[50:51]
	v_fmac_f64_e32 v[80:81], s[14:15], v[48:49]
	;; [unrolled: 1-line block ×3, first 2 shown]
	v_mul_f64 v[148:149], v[80:81], s[22:23]
	v_fmac_f64_e32 v[68:69], s[14:15], v[48:49]
	v_mul_f64 v[140:141], v[122:123], s[22:23]
	v_fmac_f64_e32 v[148:149], s[18:19], v[122:123]
	v_mul_f64 v[122:123], v[82:83], s[20:21]
	v_mul_f64 v[138:139], v[68:69], s[8:9]
	;; [unrolled: 1-line block ×3, first 2 shown]
	v_fmac_f64_e32 v[122:123], s[16:17], v[62:63]
	v_fmac_f64_e32 v[138:139], s[14:15], v[66:67]
	v_fmac_f64_e32 v[142:143], s[6:7], v[82:83]
	v_mul_f64 v[146:147], v[66:67], s[18:19]
	v_add_f64 v[66:67], v[6:7], v[148:149]
	v_add_f64 v[62:63], v[134:135], v[122:123]
	v_add_f64 v[82:83], v[6:7], -v[148:149]
	v_add_f64 v[6:7], v[134:135], -v[122:123]
	v_add_f64 v[122:123], v[0:1], v[112:113]
	v_mul_f64 v[144:145], v[54:55], s[16:17]
	v_add_f64 v[122:123], v[122:123], v[114:115]
	v_mul_f64 v[72:73], v[76:77], s[6:7]
	v_fmac_f64_e32 v[144:145], s[24:25], v[76:77]
	v_add_f64 v[122:123], v[122:123], v[116:117]
	v_add_f64 v[56:57], v[126:127], v[74:75]
	v_fmac_f64_e32 v[72:73], s[24:25], v[54:55]
	v_fmac_f64_e32 v[140:141], s[8:9], v[80:81]
	v_add_f64 v[54:55], v[124:125], v[144:145]
	v_add_f64 v[76:77], v[126:127], -v[74:75]
	v_add_f64 v[74:75], v[124:125], -v[144:145]
	v_add_f64 v[124:125], v[122:123], v[118:119]
	v_add_f64 v[122:123], v[114:115], v[116:117]
	;; [unrolled: 1-line block ×4, first 2 shown]
	v_add_f64 v[80:81], v[4:5], -v[140:141]
	v_add_f64 v[4:5], v[128:129], -v[142:143]
	v_fma_f64 v[128:129], -0.5, v[122:123], v[0:1]
	v_add_f64 v[122:123], v[104:105], -v[110:111]
	v_add_f64 v[52:53], v[130:131], v[72:73]
	v_add_f64 v[58:59], v[132:133], v[78:79]
	v_add_f64 v[72:73], v[130:131], -v[72:73]
	v_add_f64 v[78:79], v[132:133], -v[78:79]
	v_fma_f64 v[130:131], s[8:9], v[122:123], v[128:129]
	v_add_f64 v[126:127], v[106:107], -v[108:109]
	v_add_f64 v[132:133], v[112:113], -v[114:115]
	;; [unrolled: 1-line block ×3, first 2 shown]
	v_fmac_f64_e32 v[128:129], s[18:19], v[122:123]
	v_fmac_f64_e32 v[130:131], s[6:7], v[126:127]
	v_add_f64 v[132:133], v[132:133], v[134:135]
	v_fmac_f64_e32 v[128:129], s[16:17], v[126:127]
	v_fmac_f64_e32 v[130:131], s[14:15], v[132:133]
	;; [unrolled: 1-line block ×3, first 2 shown]
	v_add_f64 v[132:133], v[112:113], v[118:119]
	v_fmac_f64_e32 v[0:1], -0.5, v[132:133]
	v_fma_f64 v[134:135], s[18:19], v[126:127], v[0:1]
	v_fmac_f64_e32 v[0:1], s[8:9], v[126:127]
	v_fmac_f64_e32 v[134:135], s[6:7], v[122:123]
	v_fmac_f64_e32 v[0:1], s[16:17], v[122:123]
	v_add_f64 v[122:123], v[2:3], v[104:105]
	v_add_f64 v[48:49], v[136:137], v[138:139]
	v_fmac_f64_e32 v[146:147], s[14:15], v[68:69]
	v_add_f64 v[68:69], v[136:137], -v[138:139]
	v_add_f64 v[132:133], v[114:115], -v[112:113]
	;; [unrolled: 1-line block ×3, first 2 shown]
	v_add_f64 v[122:123], v[122:123], v[106:107]
	v_add_f64 v[132:133], v[132:133], v[136:137]
	;; [unrolled: 1-line block ×3, first 2 shown]
	v_fmac_f64_e32 v[134:135], s[14:15], v[132:133]
	v_fmac_f64_e32 v[0:1], s[14:15], v[132:133]
	v_add_f64 v[132:133], v[122:123], v[110:111]
	v_add_f64 v[122:123], v[106:107], v[108:109]
	v_fma_f64 v[122:123], -0.5, v[122:123], v[2:3]
	v_add_f64 v[112:113], v[112:113], -v[118:119]
	v_fma_f64 v[118:119], s[18:19], v[112:113], v[122:123]
	v_add_f64 v[114:115], v[114:115], -v[116:117]
	v_add_f64 v[116:117], v[104:105], -v[106:107]
	;; [unrolled: 1-line block ×3, first 2 shown]
	v_fmac_f64_e32 v[122:123], s[8:9], v[112:113]
	v_fmac_f64_e32 v[118:119], s[16:17], v[114:115]
	v_add_f64 v[116:117], v[116:117], v[126:127]
	v_fmac_f64_e32 v[122:123], s[6:7], v[114:115]
	v_fmac_f64_e32 v[118:119], s[14:15], v[116:117]
	;; [unrolled: 1-line block ×3, first 2 shown]
	v_add_f64 v[116:117], v[104:105], v[110:111]
	v_add_f64 v[104:105], v[106:107], -v[104:105]
	v_add_f64 v[106:107], v[108:109], -v[110:111]
	v_fmac_f64_e32 v[2:3], -0.5, v[116:117]
	v_add_f64 v[104:105], v[104:105], v[106:107]
	v_add_f64 v[106:107], v[94:95], v[96:97]
	v_fma_f64 v[136:137], s[8:9], v[114:115], v[2:3]
	v_fmac_f64_e32 v[2:3], s[18:19], v[114:115]
	v_fma_f64 v[106:107], -0.5, v[106:107], v[98:99]
	v_add_f64 v[108:109], v[84:85], -v[90:91]
	v_fmac_f64_e32 v[136:137], s[16:17], v[112:113]
	v_fmac_f64_e32 v[2:3], s[6:7], v[112:113]
	v_fma_f64 v[110:111], s[8:9], v[108:109], v[106:107]
	v_add_f64 v[112:113], v[86:87], -v[88:89]
	v_add_f64 v[114:115], v[92:93], -v[94:95]
	;; [unrolled: 1-line block ×3, first 2 shown]
	v_fmac_f64_e32 v[106:107], s[18:19], v[108:109]
	v_fmac_f64_e32 v[110:111], s[6:7], v[112:113]
	v_add_f64 v[114:115], v[114:115], v[116:117]
	v_fmac_f64_e32 v[106:107], s[16:17], v[112:113]
	v_fmac_f64_e32 v[110:111], s[14:15], v[114:115]
	;; [unrolled: 1-line block ×3, first 2 shown]
	v_add_f64 v[114:115], v[92:93], v[100:101]
	v_fmac_f64_e32 v[136:137], s[14:15], v[104:105]
	v_fmac_f64_e32 v[2:3], s[14:15], v[104:105]
	v_add_f64 v[104:105], v[98:99], v[92:93]
	v_fmac_f64_e32 v[98:99], -0.5, v[114:115]
	v_fma_f64 v[114:115], s[18:19], v[112:113], v[98:99]
	v_fmac_f64_e32 v[98:99], s[8:9], v[112:113]
	v_fmac_f64_e32 v[114:115], s[6:7], v[108:109]
	v_fmac_f64_e32 v[98:99], s[16:17], v[108:109]
	v_add_f64 v[108:109], v[102:103], v[84:85]
	v_add_f64 v[108:109], v[108:109], v[86:87]
	;; [unrolled: 1-line block ×7, first 2 shown]
	v_add_f64 v[116:117], v[94:95], -v[92:93]
	v_fma_f64 v[108:109], -0.5, v[108:109], v[102:103]
	v_add_f64 v[92:93], v[92:93], -v[100:101]
	v_add_f64 v[104:105], v[104:105], v[100:101]
	v_add_f64 v[126:127], v[96:97], -v[100:101]
	v_fma_f64 v[112:113], s[18:19], v[92:93], v[108:109]
	v_add_f64 v[94:95], v[94:95], -v[96:97]
	v_add_f64 v[96:97], v[84:85], -v[86:87]
	;; [unrolled: 1-line block ×3, first 2 shown]
	v_fmac_f64_e32 v[108:109], s[8:9], v[92:93]
	v_fmac_f64_e32 v[112:113], s[16:17], v[94:95]
	v_add_f64 v[96:97], v[96:97], v[100:101]
	v_fmac_f64_e32 v[108:109], s[6:7], v[94:95]
	v_fmac_f64_e32 v[112:113], s[14:15], v[96:97]
	;; [unrolled: 1-line block ×3, first 2 shown]
	v_add_f64 v[96:97], v[84:85], v[90:91]
	v_add_f64 v[116:117], v[116:117], v[126:127]
	v_fmac_f64_e32 v[102:103], -0.5, v[96:97]
	v_fmac_f64_e32 v[114:115], s[14:15], v[116:117]
	v_fmac_f64_e32 v[98:99], s[14:15], v[116:117]
	v_fma_f64 v[116:117], s[8:9], v[94:95], v[102:103]
	v_add_f64 v[84:85], v[86:87], -v[84:85]
	v_add_f64 v[86:87], v[88:89], -v[90:91]
	v_fmac_f64_e32 v[102:103], s[18:19], v[94:95]
	v_add_f64 v[84:85], v[84:85], v[86:87]
	v_fmac_f64_e32 v[102:103], s[6:7], v[92:93]
	v_fmac_f64_e32 v[102:103], s[14:15], v[84:85]
	v_mul_f64 v[140:141], v[112:113], s[6:7]
	v_fmac_f64_e32 v[140:141], s[24:25], v[110:111]
	v_mul_f64 v[110:111], v[110:111], s[16:17]
	v_mul_f64 v[150:151], v[102:103], s[22:23]
	;; [unrolled: 1-line block ×4, first 2 shown]
	v_fmac_f64_e32 v[110:111], s[24:25], v[112:113]
	v_fmac_f64_e32 v[150:151], s[18:19], v[98:99]
	;; [unrolled: 1-line block ×4, first 2 shown]
	v_add_f64 v[90:91], v[118:119], v[110:111]
	v_add_f64 v[102:103], v[2:3], v[150:151]
	;; [unrolled: 1-line block ×3, first 2 shown]
	v_add_f64 v[110:111], v[118:119], -v[110:111]
	v_add_f64 v[118:119], v[2:3], -v[150:151]
	;; [unrolled: 1-line block ×3, first 2 shown]
	v_mul_u32_u24_e32 v122, 0x5a, v162
	v_fmac_f64_e32 v[116:117], s[16:17], v[92:93]
	v_add_lshl_u32 v194, v122, v163, 4
	v_add_u32_e32 v122, 0xffffffa6, v193
	v_fmac_f64_e32 v[116:117], s[14:15], v[84:85]
	ds_write_b128 v194, v[16:19]
	ds_write_b128 v194, v[12:15] offset:144
	ds_write_b128 v194, v[8:11] offset:288
	;; [unrolled: 1-line block ×9, first 2 shown]
	v_mul_u32_u24_e32 v8, 0x5a, v165
	v_cndmask_b32_e32 v175, v122, v193, vcc
	v_add_f64 v[50:51], v[70:71], v[146:147]
	v_add_f64 v[70:71], v[70:71], -v[146:147]
	v_mul_f64 v[142:143], v[116:117], s[8:9]
	v_mul_f64 v[146:147], v[106:107], s[20:21]
	;; [unrolled: 1-line block ×3, first 2 shown]
	v_add_lshl_u32 v169, v8, v169, 4
	v_mul_i32_i24_e32 v122, 0x50, v175
	v_fmac_f64_e32 v[142:143], s[14:15], v[114:115]
	v_fmac_f64_e32 v[146:147], s[6:7], v[108:109]
	;; [unrolled: 1-line block ×3, first 2 shown]
	ds_write_b128 v169, v[56:59]
	ds_write_b128 v169, v[52:55] offset:144
	ds_write_b128 v169, v[48:51] offset:288
	;; [unrolled: 1-line block ×9, first 2 shown]
	v_mad_legacy_u16 v4, v164, s11, v168
	v_mul_hi_i32_i24_e32 v123, 0x50, v175
	v_add_co_u32_e32 v122, vcc, s10, v122
	v_add_f64 v[92:93], v[124:125], v[104:105]
	v_add_f64 v[88:89], v[130:131], v[140:141]
	;; [unrolled: 1-line block ×7, first 2 shown]
	v_add_f64 v[112:113], v[124:125], -v[104:105]
	v_add_f64 v[108:109], v[130:131], -v[140:141]
	;; [unrolled: 1-line block ×7, first 2 shown]
	v_lshlrev_b32_e32 v168, 4, v4
	v_addc_co_u32_e32 v123, vcc, v174, v123, vcc
	ds_write_b128 v168, v[92:95]
	ds_write_b128 v168, v[88:91] offset:144
	ds_write_b128 v168, v[84:87] offset:288
	ds_write_b128 v168, v[100:103] offset:432
	ds_write_b128 v168, v[96:99] offset:576
	ds_write_b128 v168, v[112:115] offset:720
	ds_write_b128 v168, v[108:111] offset:864
	ds_write_b128 v168, v[104:107] offset:1008
	ds_write_b128 v168, v[116:119] offset:1152
	ds_write_b128 v168, v[0:3] offset:1296
	s_waitcnt lgkmcnt(0)
	s_barrier
	ds_read_b128 v[16:19], v197
	ds_read_b128 v[116:119], v197 offset:8640
	ds_read_b128 v[112:115], v197 offset:17280
	;; [unrolled: 1-line block ×29, first 2 shown]
	global_load_dwordx4 v[126:129], v[122:123], off offset:1440
	global_load_dwordx4 v[130:133], v[122:123], off offset:1424
	;; [unrolled: 1-line block ×4, first 2 shown]
	s_movk_i32 s11, 0x50
	s_waitcnt vmcnt(3) lgkmcnt(14)
	v_mul_f64 v[164:165], v[104:105], v[128:129]
	s_waitcnt vmcnt(2)
	v_mul_f64 v[152:153], v[108:109], v[132:133]
	s_waitcnt vmcnt(1)
	;; [unrolled: 2-line block ×3, first 2 shown]
	v_mul_f64 v[124:125], v[118:119], v[140:141]
	v_fma_f64 v[146:147], v[116:117], v[138:139], -v[124:125]
	v_mul_f64 v[148:149], v[116:117], v[140:141]
	v_mul_f64 v[116:117], v[114:115], v[136:137]
	v_fma_f64 v[154:155], v[112:113], v[134:135], -v[116:117]
	v_mul_f64 v[112:113], v[110:111], v[132:133]
	v_fma_f64 v[150:151], v[108:109], v[130:131], -v[112:113]
	;; [unrolled: 2-line block ×3, first 2 shown]
	v_fmac_f64_e32 v[164:165], v[106:107], v[126:127]
	global_load_dwordx4 v[106:109], v[122:123], off offset:1456
	v_fmac_f64_e32 v[148:149], v[118:119], v[138:139]
	v_fmac_f64_e32 v[156:157], v[114:115], v[134:135]
	;; [unrolled: 1-line block ×3, first 2 shown]
	v_accvgpr_write_b32 a72, v126
	v_accvgpr_write_b32 a120, v138
	;; [unrolled: 1-line block ×16, first 2 shown]
	s_waitcnt vmcnt(0)
	v_mul_f64 v[104:105], v[102:103], v[108:109]
	v_fma_f64 v[158:159], v[100:101], v[106:107], -v[104:105]
	v_mul_f64 v[160:161], v[100:101], v[108:109]
	v_mul_lo_u16_sdwa v100, v170, s33 dst_sel:DWORD dst_unused:UNUSED_PAD src0_sel:BYTE_0 src1_sel:DWORD
	v_lshrrev_b16_e32 v176, 14, v100
	v_mul_lo_u16_e32 v100, 0x5a, v176
	v_sub_u16_e32 v100, v170, v100
	v_and_b32_e32 v177, 0xff, v100
	v_accvgpr_write_b32 a76, v106
	v_mad_u64_u32 v[100:101], s[34:35], v177, s11, v[120:121]
	v_fmac_f64_e32 v[160:161], v[102:103], v[106:107]
	v_accvgpr_write_b32 a77, v107
	v_accvgpr_write_b32 a78, v108
	;; [unrolled: 1-line block ×3, first 2 shown]
	global_load_dwordx4 v[104:107], v[100:101], off offset:1440
	global_load_dwordx4 v[108:111], v[100:101], off offset:1424
	;; [unrolled: 1-line block ×4, first 2 shown]
	s_movk_i32 s33, 0x2d83
	s_waitcnt vmcnt(3)
	v_mul_f64 v[144:145], v[84:85], v[106:107]
	s_waitcnt vmcnt(2)
	v_mul_f64 v[132:133], v[88:89], v[110:111]
	;; [unrolled: 2-line block ×4, first 2 shown]
	v_fma_f64 v[126:127], v[96:97], v[116:117], -v[102:103]
	v_mul_f64 v[128:129], v[96:97], v[118:119]
	v_mul_f64 v[96:97], v[94:95], v[114:115]
	v_fma_f64 v[138:139], v[92:93], v[112:113], -v[96:97]
	v_mul_f64 v[92:93], v[90:91], v[110:111]
	v_fma_f64 v[130:131], v[88:89], v[108:109], -v[92:93]
	v_mul_f64 v[88:89], v[86:87], v[106:107]
	v_fma_f64 v[142:143], v[84:85], v[104:105], -v[88:89]
	v_fmac_f64_e32 v[144:145], v[86:87], v[104:105]
	global_load_dwordx4 v[86:89], v[100:101], off offset:1456
	v_fmac_f64_e32 v[128:129], v[98:99], v[116:117]
	v_fmac_f64_e32 v[140:141], v[94:95], v[112:113]
	;; [unrolled: 1-line block ×3, first 2 shown]
	v_accvgpr_write_b32 a48, v112
	v_accvgpr_write_b32 a64, v108
	;; [unrolled: 1-line block ×16, first 2 shown]
	s_waitcnt vmcnt(0)
	v_mul_f64 v[84:85], v[82:83], v[88:89]
	v_fma_f64 v[134:135], v[80:81], v[86:87], -v[84:85]
	v_mul_f64 v[136:137], v[80:81], v[88:89]
	v_mul_u32_u24_sdwa v80, v171, s33 dst_sel:DWORD dst_unused:UNUSED_PAD src0_sel:WORD_0 src1_sel:DWORD
	v_lshrrev_b32_e32 v170, 20, v80
	v_mul_lo_u16_e32 v80, 0x5a, v170
	v_sub_u16_e32 v178, v171, v80
	v_mul_lo_u16_e32 v80, 0x50, v178
	v_add_co_u32_e32 v80, vcc, s10, v80
	v_accvgpr_write_b32 a107, v89
	v_addc_co_u32_e32 v81, vcc, 0, v174, vcc
	v_fmac_f64_e32 v[136:137], v[82:83], v[86:87]
	v_accvgpr_write_b32 a106, v88
	v_accvgpr_write_b32 a105, v87
	;; [unrolled: 1-line block ×3, first 2 shown]
	global_load_dwordx4 v[84:87], v[80:81], off offset:1440
	global_load_dwordx4 v[88:91], v[80:81], off offset:1424
	;; [unrolled: 1-line block ×4, first 2 shown]
	s_waitcnt vmcnt(3)
	v_accvgpr_write_b32 a103, v87
	v_accvgpr_write_b32 a102, v86
	s_waitcnt vmcnt(1)
	v_mul_f64 v[124:125], v[72:73], v[94:95]
	s_waitcnt vmcnt(0)
	v_mul_f64 v[82:83], v[78:79], v[98:99]
	v_fma_f64 v[122:123], v[76:77], v[96:97], -v[82:83]
	global_load_dwordx4 v[80:83], v[80:81], off offset:1456
	v_mul_f64 v[76:77], v[76:77], v[98:99]
	v_fmac_f64_e32 v[76:77], v[78:79], v[96:97]
	v_mul_f64 v[78:79], v[74:75], v[94:95]
	v_fma_f64 v[78:79], v[72:73], v[92:93], -v[78:79]
	v_mul_f64 v[72:73], v[70:71], v[90:91]
	v_fma_f64 v[72:73], v[68:69], v[88:89], -v[72:73]
	v_mul_f64 v[68:69], v[68:69], v[90:91]
	v_fmac_f64_e32 v[68:69], v[70:71], v[88:89]
	s_waitcnt lgkmcnt(13)
	v_mul_f64 v[70:71], v[66:67], v[86:87]
	v_fmac_f64_e32 v[124:125], v[74:75], v[92:93]
	v_fma_f64 v[70:71], v[64:65], v[84:85], -v[70:71]
	v_mul_f64 v[74:75], v[64:65], v[86:87]
	v_accvgpr_write_b32 a44, v96
	v_accvgpr_write_b32 a56, v92
	;; [unrolled: 1-line block ×8, first 2 shown]
	v_fmac_f64_e32 v[74:75], v[66:67], v[84:85]
	v_accvgpr_write_b32 a101, v85
	v_accvgpr_write_b32 a100, v84
	;; [unrolled: 1-line block ×6, first 2 shown]
	s_waitcnt vmcnt(0) lgkmcnt(12)
	v_mul_f64 v[64:65], v[62:63], v[82:83]
	v_fma_f64 v[64:65], v[60:61], v[80:81], -v[64:65]
	v_mul_f64 v[60:61], v[60:61], v[82:83]
	v_fmac_f64_e32 v[60:61], v[62:63], v[80:81]
	v_mul_u32_u24_sdwa v62, v172, s33 dst_sel:DWORD dst_unused:UNUSED_PAD src0_sel:WORD_0 src1_sel:DWORD
	v_lshrrev_b32_e32 v171, 20, v62
	v_mul_lo_u16_e32 v62, 0x5a, v171
	v_sub_u16_e32 v179, v172, v62
	v_mul_lo_u16_e32 v62, 0x50, v179
	v_add_co_u32_e32 v62, vcc, s10, v62
	v_accvgpr_write_b32 a131, v83
	v_addc_co_u32_e32 v63, vcc, 0, v174, vcc
	v_accvgpr_write_b32 a130, v82
	v_accvgpr_write_b32 a129, v81
	;; [unrolled: 1-line block ×3, first 2 shown]
	global_load_dwordx4 v[84:87], v[62:63], off offset:1440
	global_load_dwordx4 v[80:83], v[62:63], off offset:1424
	;; [unrolled: 1-line block ×4, first 2 shown]
	s_waitcnt vmcnt(3)
	v_accvgpr_write_b32 a135, v87
	v_accvgpr_write_b32 a134, v86
	;; [unrolled: 1-line block ×3, first 2 shown]
	s_waitcnt vmcnt(0) lgkmcnt(10)
	v_mul_f64 v[66:67], v[58:59], v[100:101]
	v_mul_f64 v[92:93], v[56:57], v[100:101]
	v_accvgpr_write_b32 a60, v98
	v_fma_f64 v[90:91], v[56:57], v[98:99], -v[66:67]
	v_fmac_f64_e32 v[92:93], v[58:59], v[98:99]
	v_accvgpr_write_b32 a61, v99
	v_accvgpr_write_b32 a62, v100
	;; [unrolled: 1-line block ×3, first 2 shown]
	v_pk_mov_b32 v[98:99], v[96:97], v[96:97] op_sel:[0,1]
	v_pk_mov_b32 v[96:97], v[94:95], v[94:95] op_sel:[0,1]
	s_waitcnt lgkmcnt(9)
	v_mul_f64 v[56:57], v[54:55], v[98:99]
	v_mul_f64 v[94:95], v[52:53], v[98:99]
	v_fma_f64 v[88:89], v[52:53], v[96:97], -v[56:57]
	v_fmac_f64_e32 v[94:95], v[54:55], v[96:97]
	v_pk_mov_b32 v[54:55], v[80:81], v[80:81] op_sel:[0,1]
	v_pk_mov_b32 v[56:57], v[82:83], v[82:83] op_sel:[0,1]
	v_accvgpr_write_b32 a88, v96
	s_waitcnt lgkmcnt(8)
	v_mul_f64 v[52:53], v[50:51], v[56:57]
	v_accvgpr_write_b32 a89, v97
	v_accvgpr_write_b32 a90, v98
	v_accvgpr_write_b32 a91, v99
	v_fma_f64 v[80:81], v[48:49], v[54:55], -v[52:53]
	v_mul_f64 v[82:83], v[48:49], v[56:57]
	s_waitcnt lgkmcnt(7)
	v_mul_f64 v[48:49], v[46:47], v[86:87]
	v_mul_f64 v[98:99], v[44:45], v[86:87]
	v_fma_f64 v[96:97], v[44:45], v[84:85], -v[48:49]
	v_fmac_f64_e32 v[98:99], v[46:47], v[84:85]
	global_load_dwordx4 v[46:49], v[62:63], off offset:1456
	v_accvgpr_write_b32 a132, v84
	v_accvgpr_write_b32 a115, v57
	v_fmac_f64_e32 v[82:83], v[50:51], v[54:55]
	v_accvgpr_write_b32 a114, v56
	v_accvgpr_write_b32 a113, v55
	;; [unrolled: 1-line block ×3, first 2 shown]
	s_waitcnt vmcnt(0) lgkmcnt(6)
	v_mul_f64 v[44:45], v[42:43], v[48:49]
	v_fma_f64 v[84:85], v[40:41], v[46:47], -v[44:45]
	v_mul_f64 v[86:87], v[40:41], v[48:49]
	v_mul_u32_u24_sdwa v40, v173, s33 dst_sel:DWORD dst_unused:UNUSED_PAD src0_sel:WORD_0 src1_sel:DWORD
	v_lshrrev_b32_e32 v172, 20, v40
	v_mul_lo_u16_e32 v40, 0x5a, v172
	v_sub_u16_e32 v173, v173, v40
	v_mul_lo_u16_e32 v40, 0x50, v173
	v_add_co_u32_e32 v40, vcc, s10, v40
	v_accvgpr_write_b32 a143, v49
	v_addc_co_u32_e32 v41, vcc, 0, v174, vcc
	v_fmac_f64_e32 v[86:87], v[42:43], v[46:47]
	v_accvgpr_write_b32 a142, v48
	v_accvgpr_write_b32 a141, v47
	;; [unrolled: 1-line block ×3, first 2 shown]
	global_load_dwordx4 v[44:47], v[40:41], off offset:1440
	global_load_dwordx4 v[48:51], v[40:41], off offset:1424
	;; [unrolled: 1-line block ×4, first 2 shown]
	s_movk_i32 s10, 0x59
	v_cmp_lt_u16_e32 vcc, s10, v193
	s_waitcnt vmcnt(3) lgkmcnt(1)
	v_mul_f64 v[118:119], v[24:25], v[46:47]
	s_waitcnt vmcnt(2)
	v_mul_f64 v[102:103], v[28:29], v[50:51]
	s_waitcnt vmcnt(1)
	v_mul_f64 v[114:115], v[32:33], v[54:55]
	s_waitcnt vmcnt(0)
	v_mul_f64 v[42:43], v[38:39], v[58:59]
	v_fma_f64 v[110:111], v[36:37], v[56:57], -v[42:43]
	v_mul_f64 v[112:113], v[36:37], v[58:59]
	v_mul_f64 v[36:37], v[34:35], v[54:55]
	v_fma_f64 v[108:109], v[32:33], v[52:53], -v[36:37]
	v_mul_f64 v[32:33], v[30:31], v[50:51]
	v_fma_f64 v[100:101], v[28:29], v[48:49], -v[32:33]
	;; [unrolled: 2-line block ×3, first 2 shown]
	v_fmac_f64_e32 v[118:119], v[26:27], v[44:45]
	global_load_dwordx4 v[26:29], v[40:41], off offset:1456
	v_fmac_f64_e32 v[114:115], v[34:35], v[52:53]
	v_fmac_f64_e32 v[112:113], v[38:39], v[56:57]
	;; [unrolled: 1-line block ×3, first 2 shown]
	v_accvgpr_write_b32 a119, v51
	v_accvgpr_write_b32 a127, v47
	v_accvgpr_write_b32 a118, v50
	v_accvgpr_write_b32 a117, v49
	v_accvgpr_write_b32 a116, v48
	v_accvgpr_write_b32 a126, v46
	v_accvgpr_write_b32 a125, v45
	v_accvgpr_write_b32 a124, v44
	v_accvgpr_write_b32 a95, v55
	v_accvgpr_write_b32 a94, v54
	v_accvgpr_write_b32 a93, v53
	v_accvgpr_write_b32 a92, v52
	v_accvgpr_write_b32 a71, v59
	v_accvgpr_write_b32 a70, v58
	v_accvgpr_write_b32 a69, v57
	v_accvgpr_write_b32 a68, v56
	s_waitcnt lgkmcnt(0)
	s_barrier
	s_waitcnt vmcnt(0)
	v_mul_f64 v[24:25], v[22:23], v[28:29]
	v_fma_f64 v[104:105], v[20:21], v[26:27], -v[24:25]
	v_mul_f64 v[106:107], v[20:21], v[28:29]
	v_add_f64 v[20:21], v[16:17], v[154:155]
	v_add_f64 v[32:33], v[20:21], v[162:163]
	;; [unrolled: 1-line block ×3, first 2 shown]
	v_fmac_f64_e32 v[16:17], -0.5, v[20:21]
	v_add_f64 v[20:21], v[156:157], -v[164:165]
	v_fma_f64 v[34:35], s[2:3], v[20:21], v[16:17]
	v_fmac_f64_e32 v[16:17], s[4:5], v[20:21]
	v_add_f64 v[20:21], v[18:19], v[156:157]
	v_add_f64 v[38:39], v[20:21], v[164:165]
	;; [unrolled: 1-line block ×3, first 2 shown]
	v_fmac_f64_e32 v[18:19], -0.5, v[20:21]
	v_add_f64 v[20:21], v[154:155], -v[162:163]
	v_fma_f64 v[40:41], s[4:5], v[20:21], v[18:19]
	v_fmac_f64_e32 v[18:19], s[2:3], v[20:21]
	v_add_f64 v[20:21], v[146:147], v[150:151]
	v_add_f64 v[36:37], v[20:21], v[158:159]
	;; [unrolled: 1-line block ×3, first 2 shown]
	v_fmac_f64_e32 v[146:147], -0.5, v[20:21]
	v_add_f64 v[20:21], v[152:153], -v[160:161]
	v_fmac_f64_e32 v[106:107], v[22:23], v[26:27]
	v_fma_f64 v[22:23], s[2:3], v[20:21], v[146:147]
	v_fmac_f64_e32 v[146:147], s[4:5], v[20:21]
	v_add_f64 v[20:21], v[148:149], v[152:153]
	v_add_f64 v[42:43], v[20:21], v[160:161]
	;; [unrolled: 1-line block ×3, first 2 shown]
	v_fmac_f64_e32 v[148:149], -0.5, v[20:21]
	v_add_f64 v[20:21], v[150:151], -v[158:159]
	v_fma_f64 v[30:31], s[4:5], v[20:21], v[148:149]
	v_mul_f64 v[44:45], v[30:31], s[2:3]
	v_mul_f64 v[48:49], v[22:23], s[4:5]
	v_fmac_f64_e32 v[44:45], 0.5, v[22:23]
	v_fmac_f64_e32 v[48:49], 0.5, v[30:31]
	v_fmac_f64_e32 v[148:149], s[2:3], v[20:21]
	v_add_f64 v[24:25], v[32:33], v[36:37]
	v_add_f64 v[20:21], v[34:35], v[44:45]
	;; [unrolled: 1-line block ×3, first 2 shown]
	v_add_f64 v[36:37], v[32:33], -v[36:37]
	v_add_f64 v[32:33], v[34:35], -v[44:45]
	;; [unrolled: 1-line block ×3, first 2 shown]
	v_add_f64 v[40:41], v[12:13], v[138:139]
	v_add_f64 v[52:53], v[40:41], v[142:143]
	;; [unrolled: 1-line block ×3, first 2 shown]
	v_fmac_f64_e32 v[12:13], -0.5, v[40:41]
	v_add_f64 v[40:41], v[140:141], -v[144:145]
	v_fma_f64 v[54:55], s[2:3], v[40:41], v[12:13]
	v_fmac_f64_e32 v[12:13], s[4:5], v[40:41]
	v_add_f64 v[40:41], v[14:15], v[140:141]
	v_add_f64 v[58:59], v[40:41], v[144:145]
	;; [unrolled: 1-line block ×3, first 2 shown]
	v_fmac_f64_e32 v[14:15], -0.5, v[40:41]
	v_add_f64 v[40:41], v[138:139], -v[142:143]
	v_fma_f64 v[62:63], s[4:5], v[40:41], v[14:15]
	v_fmac_f64_e32 v[14:15], s[2:3], v[40:41]
	v_add_f64 v[40:41], v[126:127], v[130:131]
	v_add_f64 v[56:57], v[40:41], v[134:135]
	;; [unrolled: 1-line block ×3, first 2 shown]
	v_accvgpr_write_b32 a139, v29
	v_fmac_f64_e32 v[126:127], -0.5, v[40:41]
	v_add_f64 v[40:41], v[132:133], -v[136:137]
	v_accvgpr_write_b32 a138, v28
	v_accvgpr_write_b32 a137, v27
	;; [unrolled: 1-line block ×3, first 2 shown]
	v_add_f64 v[26:27], v[38:39], v[42:43]
	v_add_f64 v[38:39], v[38:39], -v[42:43]
	v_fma_f64 v[42:43], s[2:3], v[40:41], v[126:127]
	v_fmac_f64_e32 v[126:127], s[4:5], v[40:41]
	v_add_f64 v[40:41], v[128:129], v[132:133]
	v_mul_f64 v[50:51], v[148:149], -0.5
	v_add_f64 v[66:67], v[40:41], v[136:137]
	v_add_f64 v[40:41], v[132:133], v[136:137]
	v_fmac_f64_e32 v[50:51], s[4:5], v[146:147]
	v_fmac_f64_e32 v[128:129], -0.5, v[40:41]
	v_add_f64 v[40:41], v[130:131], -v[134:135]
	v_add_f64 v[30:31], v[18:19], v[50:51]
	v_add_f64 v[18:19], v[18:19], -v[50:51]
	v_fma_f64 v[50:51], s[4:5], v[40:41], v[128:129]
	v_mul_f64 v[130:131], v[50:51], s[2:3]
	v_mul_f64 v[134:135], v[42:43], s[4:5]
	v_fmac_f64_e32 v[128:129], s[2:3], v[40:41]
	v_fmac_f64_e32 v[130:131], 0.5, v[42:43]
	v_mul_f64 v[132:133], v[126:127], -0.5
	v_fmac_f64_e32 v[134:135], 0.5, v[50:51]
	v_add_f64 v[44:45], v[52:53], v[56:57]
	v_add_f64 v[40:41], v[54:55], v[130:131]
	v_fmac_f64_e32 v[132:133], s[2:3], v[128:129]
	v_add_f64 v[42:43], v[62:63], v[134:135]
	v_mul_f64 v[128:129], v[128:129], -0.5
	v_add_f64 v[56:57], v[52:53], -v[56:57]
	v_add_f64 v[52:53], v[54:55], -v[130:131]
	;; [unrolled: 1-line block ×3, first 2 shown]
	v_add_f64 v[62:63], v[8:9], v[78:79]
	v_fmac_f64_e32 v[128:129], s[4:5], v[126:127]
	v_add_f64 v[126:127], v[62:63], v[70:71]
	v_add_f64 v[62:63], v[78:79], v[70:71]
	v_fmac_f64_e32 v[8:9], -0.5, v[62:63]
	v_add_f64 v[62:63], v[124:125], -v[74:75]
	v_add_f64 v[50:51], v[14:15], v[128:129]
	v_add_f64 v[14:15], v[14:15], -v[128:129]
	v_fma_f64 v[128:129], s[2:3], v[62:63], v[8:9]
	v_fmac_f64_e32 v[8:9], s[4:5], v[62:63]
	v_add_f64 v[62:63], v[10:11], v[124:125]
	v_add_f64 v[130:131], v[62:63], v[74:75]
	;; [unrolled: 1-line block ×3, first 2 shown]
	v_fmac_f64_e32 v[10:11], -0.5, v[62:63]
	v_add_f64 v[62:63], v[78:79], -v[70:71]
	v_fma_f64 v[74:75], s[4:5], v[62:63], v[10:11]
	v_fmac_f64_e32 v[10:11], s[2:3], v[62:63]
	v_add_f64 v[62:63], v[122:123], v[72:73]
	v_add_f64 v[78:79], v[62:63], v[64:65]
	;; [unrolled: 1-line block ×3, first 2 shown]
	v_fmac_f64_e32 v[122:123], -0.5, v[62:63]
	v_add_f64 v[62:63], v[68:69], -v[60:61]
	v_fma_f64 v[70:71], s[2:3], v[62:63], v[122:123]
	v_fmac_f64_e32 v[122:123], s[4:5], v[62:63]
	v_add_f64 v[62:63], v[76:77], v[68:69]
	v_add_f64 v[124:125], v[62:63], v[60:61]
	;; [unrolled: 1-line block ×3, first 2 shown]
	v_mul_f64 v[46:47], v[146:147], -0.5
	v_fmac_f64_e32 v[76:77], -0.5, v[60:61]
	v_add_f64 v[60:61], v[72:73], -v[64:65]
	v_fmac_f64_e32 v[46:47], s[2:3], v[148:149]
	v_add_f64 v[48:49], v[12:13], v[132:133]
	v_add_f64 v[12:13], v[12:13], -v[132:133]
	v_fma_f64 v[62:63], s[4:5], v[60:61], v[76:77]
	v_fmac_f64_e32 v[76:77], s[2:3], v[60:61]
	v_mul_f64 v[132:133], v[122:123], -0.5
	v_add_f64 v[28:29], v[16:17], v[46:47]
	v_add_f64 v[16:17], v[16:17], -v[46:47]
	v_add_f64 v[46:47], v[58:59], v[66:67]
	v_add_f64 v[58:59], v[58:59], -v[66:67]
	v_add_f64 v[64:65], v[126:127], v[78:79]
	v_fmac_f64_e32 v[132:133], s[2:3], v[76:77]
	v_add_f64 v[66:67], v[130:131], v[124:125]
	v_mul_f64 v[136:137], v[76:77], -0.5
	v_add_f64 v[76:77], v[126:127], -v[78:79]
	v_add_f64 v[78:79], v[130:131], -v[124:125]
	v_add_f64 v[124:125], v[88:89], v[96:97]
	v_fmac_f64_e32 v[136:137], s[4:5], v[122:123]
	v_add_f64 v[122:123], v[4:5], v[88:89]
	v_fmac_f64_e32 v[4:5], -0.5, v[124:125]
	v_add_f64 v[124:125], v[94:95], -v[98:99]
	v_fma_f64 v[126:127], s[2:3], v[124:125], v[4:5]
	v_fmac_f64_e32 v[4:5], s[4:5], v[124:125]
	v_add_f64 v[124:125], v[6:7], v[94:95]
	v_add_f64 v[94:95], v[94:95], v[98:99]
	v_fmac_f64_e32 v[6:7], -0.5, v[94:95]
	v_add_f64 v[88:89], v[88:89], -v[96:97]
	v_fma_f64 v[94:95], s[4:5], v[88:89], v[6:7]
	v_fmac_f64_e32 v[6:7], s[2:3], v[88:89]
	v_add_f64 v[88:89], v[90:91], v[80:81]
	v_add_f64 v[122:123], v[122:123], v[96:97]
	;; [unrolled: 1-line block ×4, first 2 shown]
	v_fmac_f64_e32 v[90:91], -0.5, v[88:89]
	v_add_f64 v[88:89], v[82:83], -v[86:87]
	v_add_f64 v[124:125], v[124:125], v[98:99]
	v_fma_f64 v[98:99], s[2:3], v[88:89], v[90:91]
	v_fmac_f64_e32 v[90:91], s[4:5], v[88:89]
	v_add_f64 v[88:89], v[92:93], v[82:83]
	v_add_f64 v[82:83], v[82:83], v[86:87]
	v_mul_f64 v[72:73], v[62:63], s[2:3]
	v_fmac_f64_e32 v[92:93], -0.5, v[82:83]
	v_add_f64 v[80:81], v[80:81], -v[84:85]
	v_fmac_f64_e32 v[72:73], 0.5, v[70:71]
	v_mul_f64 v[134:135], v[70:71], s[4:5]
	v_fma_f64 v[82:83], s[4:5], v[80:81], v[92:93]
	v_add_f64 v[60:61], v[128:129], v[72:73]
	v_fmac_f64_e32 v[134:135], 0.5, v[62:63]
	v_add_f64 v[72:73], v[128:129], -v[72:73]
	v_add_f64 v[128:129], v[88:89], v[86:87]
	v_mul_f64 v[130:131], v[82:83], s[2:3]
	v_add_f64 v[62:63], v[74:75], v[134:135]
	v_add_f64 v[74:75], v[74:75], -v[134:135]
	v_fmac_f64_e32 v[130:131], 0.5, v[98:99]
	v_add_f64 v[86:87], v[124:125], v[128:129]
	v_mul_f64 v[134:135], v[98:99], s[4:5]
	v_add_f64 v[98:99], v[124:125], -v[128:129]
	v_add_f64 v[124:125], v[108:109], v[116:117]
	v_add_f64 v[68:69], v[8:9], v[132:133]
	v_add_f64 v[8:9], v[8:9], -v[132:133]
	v_fmac_f64_e32 v[92:93], s[2:3], v[80:81]
	v_add_f64 v[84:85], v[122:123], v[96:97]
	v_mul_f64 v[132:133], v[90:91], -0.5
	v_add_f64 v[96:97], v[122:123], -v[96:97]
	v_add_f64 v[122:123], v[0:1], v[108:109]
	v_fmac_f64_e32 v[0:1], -0.5, v[124:125]
	v_add_f64 v[124:125], v[114:115], -v[118:119]
	v_add_f64 v[70:71], v[10:11], v[136:137]
	v_add_f64 v[10:11], v[10:11], -v[136:137]
	v_add_f64 v[80:81], v[126:127], v[130:131]
	v_fmac_f64_e32 v[132:133], s[2:3], v[92:93]
	v_mul_f64 v[136:137], v[92:93], -0.5
	v_add_f64 v[92:93], v[126:127], -v[130:131]
	v_fma_f64 v[126:127], s[2:3], v[124:125], v[0:1]
	v_fmac_f64_e32 v[0:1], s[4:5], v[124:125]
	v_add_f64 v[124:125], v[2:3], v[114:115]
	v_add_f64 v[114:115], v[114:115], v[118:119]
	v_fmac_f64_e32 v[2:3], -0.5, v[114:115]
	v_add_f64 v[108:109], v[108:109], -v[116:117]
	v_fma_f64 v[114:115], s[4:5], v[108:109], v[2:3]
	v_fmac_f64_e32 v[2:3], s[2:3], v[108:109]
	v_add_f64 v[108:109], v[110:111], v[100:101]
	v_add_f64 v[122:123], v[122:123], v[116:117]
	v_add_f64 v[116:117], v[108:109], v[104:105]
	v_add_f64 v[108:109], v[100:101], v[104:105]
	v_add_f64 v[100:101], v[100:101], -v[104:105]
	v_add_f64 v[104:105], v[122:123], v[116:117]
	v_add_f64 v[116:117], v[122:123], -v[116:117]
	v_mov_b32_e32 v122, 0x21c
	v_cndmask_b32_e32 v122, 0, v122, vcc
	v_add_lshl_u32 v164, v175, v122, 4
	ds_write_b128 v164, v[24:27]
	ds_write_b128 v164, v[20:23] offset:1440
	ds_write_b128 v164, v[28:31] offset:2880
	;; [unrolled: 1-line block ×5, first 2 shown]
	v_mul_u32_u24_e32 v16, 0x21c, v176
	v_fmac_f64_e32 v[110:111], -0.5, v[108:109]
	v_add_f64 v[108:109], v[102:103], -v[106:107]
	v_add_lshl_u32 v165, v16, v177, 4
	v_add_f64 v[124:125], v[124:125], v[118:119]
	v_fma_f64 v[118:119], s[2:3], v[108:109], v[110:111]
	v_fmac_f64_e32 v[110:111], s[4:5], v[108:109]
	v_add_f64 v[108:109], v[112:113], v[102:103]
	v_add_f64 v[102:103], v[102:103], v[106:107]
	ds_write_b128 v165, v[44:47]
	ds_write_b128 v165, v[40:43] offset:1440
	ds_write_b128 v165, v[48:51] offset:2880
	;; [unrolled: 1-line block ×5, first 2 shown]
	v_mad_legacy_u16 v12, v170, s31, v178
	v_mad_u64_u32 v[146:147], s[10:11], v193, s11, v[120:121]
	v_fmac_f64_e32 v[112:113], -0.5, v[102:103]
	v_lshlrev_b32_e32 v195, 4, v12
	s_movk_i32 s10, 0x2190
	v_fmac_f64_e32 v[134:135], 0.5, v[82:83]
	v_fmac_f64_e32 v[136:137], s[4:5], v[90:91]
	v_fma_f64 v[102:103], s[4:5], v[100:101], v[112:113]
	v_fmac_f64_e32 v[112:113], s[2:3], v[100:101]
	ds_write_b128 v195, v[64:67]
	ds_write_b128 v195, v[60:63] offset:1440
	ds_write_b128 v195, v[68:71] offset:2880
	;; [unrolled: 1-line block ×5, first 2 shown]
	v_mad_legacy_u16 v8, v171, s31, v179
	v_add_co_u32_e32 v28, vcc, s10, v146
	v_add_f64 v[88:89], v[4:5], v[132:133]
	v_add_f64 v[82:83], v[94:95], v[134:135]
	;; [unrolled: 1-line block ×3, first 2 shown]
	v_add_f64 v[4:5], v[4:5], -v[132:133]
	v_add_f64 v[94:95], v[94:95], -v[134:135]
	;; [unrolled: 1-line block ×3, first 2 shown]
	v_mul_f64 v[130:131], v[102:103], s[2:3]
	v_mul_f64 v[132:133], v[110:111], -0.5
	v_mul_f64 v[134:135], v[118:119], s[4:5]
	v_mul_f64 v[136:137], v[112:113], -0.5
	v_lshlrev_b32_e32 v202, 4, v8
	v_addc_co_u32_e32 v29, vcc, 0, v147, vcc
	v_add_f64 v[128:129], v[108:109], v[106:107]
	v_fmac_f64_e32 v[130:131], 0.5, v[118:119]
	v_fmac_f64_e32 v[132:133], s[2:3], v[112:113]
	v_fmac_f64_e32 v[134:135], 0.5, v[102:103]
	v_fmac_f64_e32 v[136:137], s[4:5], v[110:111]
	ds_write_b128 v202, v[84:87]
	ds_write_b128 v202, v[80:83] offset:1440
	ds_write_b128 v202, v[88:91] offset:2880
	ds_write_b128 v202, v[96:99] offset:4320
	ds_write_b128 v202, v[92:95] offset:5760
	ds_write_b128 v202, v[4:7] offset:7200
	v_mad_legacy_u16 v4, v172, s31, v173
	v_add_co_u32_e32 v120, vcc, s30, v146
	v_add_f64 v[100:101], v[126:127], v[130:131]
	v_add_f64 v[108:109], v[0:1], v[132:133]
	;; [unrolled: 1-line block ×5, first 2 shown]
	v_add_f64 v[112:113], v[126:127], -v[130:131]
	v_add_f64 v[0:1], v[0:1], -v[132:133]
	;; [unrolled: 1-line block ×5, first 2 shown]
	v_lshlrev_b32_e32 v203, 4, v4
	v_addc_co_u32_e32 v121, vcc, 0, v147, vcc
	ds_write_b128 v203, v[104:107]
	ds_write_b128 v203, v[100:103] offset:1440
	ds_write_b128 v203, v[108:111] offset:2880
	;; [unrolled: 1-line block ×5, first 2 shown]
	s_waitcnt lgkmcnt(0)
	s_barrier
	ds_read_b128 v[16:19], v197
	ds_read_b128 v[116:119], v197 offset:8640
	ds_read_b128 v[112:115], v197 offset:17280
	ds_read_b128 v[108:111], v197 offset:25920
	ds_read_b128 v[104:107], v197 offset:34560
	ds_read_b128 v[100:103], v197 offset:43200
	ds_read_b128 v[12:15], v197 offset:1728
	ds_read_b128 v[96:99], v197 offset:10368
	ds_read_b128 v[92:95], v197 offset:19008
	ds_read_b128 v[88:91], v197 offset:27648
	ds_read_b128 v[84:87], v197 offset:36288
	ds_read_b128 v[80:83], v197 offset:44928
	ds_read_b128 v[0:3], v197 offset:3456
	ds_read_b128 v[76:79], v197 offset:12096
	ds_read_b128 v[72:75], v197 offset:20736
	ds_read_b128 v[68:71], v197 offset:29376
	ds_read_b128 v[64:67], v197 offset:38016
	ds_read_b128 v[60:63], v197 offset:46656
	ds_read_b128 v[4:7], v197 offset:5184
	ds_read_b128 v[56:59], v197 offset:13824
	ds_read_b128 v[52:55], v197 offset:22464
	ds_read_b128 v[48:51], v197 offset:31104
	ds_read_b128 v[44:47], v197 offset:39744
	ds_read_b128 v[40:43], v197 offset:48384
	ds_read_b128 v[8:11], v197 offset:6912
	ds_read_b128 v[36:39], v197 offset:15552
	ds_read_b128 v[136:139], v197 offset:24192
	ds_read_b128 v[204:207], v197 offset:32832
	ds_read_b128 v[24:27], v197 offset:41472
	ds_read_b128 v[20:23], v197 offset:50112
	global_load_dwordx4 v[140:143], v[120:121], off offset:400
	global_load_dwordx4 v[122:125], v[28:29], off offset:48
	;; [unrolled: 1-line block ×5, first 2 shown]
	s_movk_i32 s10, 0x4350
	s_waitcnt vmcnt(4) lgkmcnt(14)
	v_mul_f64 v[28:29], v[118:119], v[142:143]
	v_fma_f64 v[30:31], v[116:117], v[140:141], -v[28:29]
	v_mul_f64 v[32:33], v[116:117], v[142:143]
	s_waitcnt vmcnt(1)
	v_mul_f64 v[28:29], v[114:115], v[132:133]
	v_mul_f64 v[150:151], v[112:113], v[132:133]
	v_fma_f64 v[116:117], v[112:113], v[130:131], -v[28:29]
	v_fmac_f64_e32 v[150:151], v[114:115], v[130:131]
	v_pk_mov_b32 v[112:113], v[126:127], v[126:127] op_sel:[0,1]
	v_pk_mov_b32 v[114:115], v[128:129], v[128:129] op_sel:[0,1]
	v_mul_f64 v[28:29], v[110:111], v[114:115]
	v_mul_f64 v[34:35], v[108:109], v[114:115]
	v_fma_f64 v[128:129], v[108:109], v[112:113], -v[28:29]
	v_fmac_f64_e32 v[34:35], v[110:111], v[112:113]
	v_pk_mov_b32 v[108:109], v[122:123], v[122:123] op_sel:[0,1]
	v_pk_mov_b32 v[110:111], v[124:125], v[124:125] op_sel:[0,1]
	v_mul_f64 v[28:29], v[106:107], v[110:111]
	v_fma_f64 v[28:29], v[104:105], v[108:109], -v[28:29]
	v_mul_f64 v[158:159], v[104:105], v[110:111]
	s_waitcnt vmcnt(0)
	v_mul_f64 v[104:105], v[102:103], v[162:163]
	v_fma_f64 v[104:105], v[100:101], v[160:161], -v[104:105]
	v_mul_f64 v[148:149], v[100:101], v[162:163]
	v_add_co_u32_e32 v100, vcc, s10, v146
	v_addc_co_u32_e32 v101, vcc, 0, v147, vcc
	v_fmac_f64_e32 v[148:149], v[102:103], v[160:161]
	v_add_co_u32_e32 v102, vcc, s27, v146
	v_addc_co_u32_e32 v103, vcc, 0, v147, vcc
	v_fmac_f64_e32 v[158:159], v[106:107], v[108:109]
	global_load_dwordx4 v[154:157], v[102:103], off offset:848
	global_load_dwordx4 v[106:109], v[100:101], off offset:48
	;; [unrolled: 1-line block ×5, first 2 shown]
	v_accvgpr_write_b32 a0, v122
	v_accvgpr_write_b32 a20, v140
	;; [unrolled: 1-line block ×8, first 2 shown]
	v_fmac_f64_e32 v[32:33], v[118:119], v[140:141]
	v_accvgpr_write_b32 a8, v130
	s_movk_i32 s10, 0x6510
	v_accvgpr_write_b32 a9, v131
	v_accvgpr_write_b32 a10, v132
	v_accvgpr_write_b32 a11, v133
	v_accvgpr_write_b32 a4, v112
	v_accvgpr_write_b32 a5, v113
	v_accvgpr_write_b32 a6, v114
	v_accvgpr_write_b32 a7, v115
	s_waitcnt vmcnt(4)
	v_mul_f64 v[100:101], v[98:99], v[156:157]
	v_fma_f64 v[124:125], v[96:97], v[154:155], -v[100:101]
	v_mul_f64 v[126:127], v[96:97], v[156:157]
	s_waitcnt vmcnt(1)
	v_mul_f64 v[96:97], v[94:95], v[172:173]
	v_fma_f64 v[96:97], v[92:93], v[170:171], -v[96:97]
	v_mul_f64 v[142:143], v[92:93], v[172:173]
	v_mul_f64 v[92:93], v[90:91], v[192:193]
	v_fma_f64 v[100:101], v[88:89], v[190:191], -v[92:93]
	v_mul_f64 v[134:135], v[88:89], v[192:193]
	;; [unrolled: 3-line block ×3, first 2 shown]
	s_waitcnt vmcnt(0)
	v_mul_f64 v[84:85], v[82:83], v[180:181]
	v_fma_f64 v[84:85], v[80:81], v[178:179], -v[84:85]
	v_mul_f64 v[132:133], v[80:81], v[180:181]
	v_add_co_u32_e32 v80, vcc, s10, v146
	v_addc_co_u32_e32 v81, vcc, 0, v147, vcc
	v_fmac_f64_e32 v[132:133], v[82:83], v[178:179]
	v_add_co_u32_e32 v82, vcc, s29, v146
	v_addc_co_u32_e32 v83, vcc, 0, v147, vcc
	v_fmac_f64_e32 v[134:135], v[90:91], v[190:191]
	global_load_dwordx4 v[174:177], v[82:83], off offset:1296
	global_load_dwordx4 v[90:93], v[80:81], off offset:48
	;; [unrolled: 1-line block ×5, first 2 shown]
	s_mov_b32 s10, 0x86d0
	v_fmac_f64_e32 v[142:143], v[94:95], v[170:171]
	v_accvgpr_write_b32 a12, v106
	v_accvgpr_write_b32 a13, v107
	;; [unrolled: 1-line block ×4, first 2 shown]
	v_fmac_f64_e32 v[126:127], v[98:99], v[154:155]
	v_fmac_f64_e32 v[140:141], v[86:87], v[106:107]
	s_waitcnt vmcnt(4)
	v_mul_f64 v[80:81], v[78:79], v[176:177]
	v_fma_f64 v[120:121], v[76:77], v[174:175], -v[80:81]
	v_mul_f64 v[76:77], v[76:77], v[176:177]
	v_fmac_f64_e32 v[76:77], v[78:79], v[174:175]
	s_waitcnt vmcnt(1)
	v_mul_f64 v[78:79], v[74:75], v[184:185]
	v_fma_f64 v[78:79], v[72:73], v[182:183], -v[78:79]
	v_mul_f64 v[122:123], v[72:73], v[184:185]
	v_mul_f64 v[72:73], v[70:71], v[250:251]
	v_fma_f64 v[72:73], v[68:69], v[248:249], -v[72:73]
	v_mul_f64 v[68:69], v[68:69], v[250:251]
	v_fmac_f64_e32 v[68:69], v[70:71], v[248:249]
	s_waitcnt lgkmcnt(13)
	v_mul_f64 v[70:71], v[66:67], v[92:93]
	v_fmac_f64_e32 v[122:123], v[74:75], v[182:183]
	v_fma_f64 v[70:71], v[64:65], v[90:91], -v[70:71]
	v_mul_f64 v[74:75], v[64:65], v[92:93]
	s_waitcnt vmcnt(0) lgkmcnt(12)
	v_mul_f64 v[64:65], v[62:63], v[210:211]
	v_fma_f64 v[64:65], v[60:61], v[208:209], -v[64:65]
	v_mul_f64 v[60:61], v[60:61], v[210:211]
	v_fmac_f64_e32 v[60:61], v[62:63], v[208:209]
	v_add_co_u32_e32 v62, vcc, s10, v146
	v_addc_co_u32_e32 v63, vcc, 0, v147, vcc
	v_fmac_f64_e32 v[74:75], v[66:67], v[90:91]
	v_add_co_u32_e32 v66, vcc, s26, v146
	v_addc_co_u32_e32 v67, vcc, 0, v147, vcc
	global_load_dwordx4 v[186:189], v[66:67], off offset:1744
	global_load_dwordx4 v[110:113], v[62:63], off offset:48
	;; [unrolled: 1-line block ×5, first 2 shown]
	v_accvgpr_write_b32 a16, v90
	v_accvgpr_write_b32 a17, v91
	;; [unrolled: 1-line block ×4, first 2 shown]
	s_mov_b32 s10, 0xa890
	s_waitcnt vmcnt(4) lgkmcnt(10)
	v_mul_f64 v[62:63], v[58:59], v[188:189]
	v_fma_f64 v[90:91], v[56:57], v[186:187], -v[62:63]
	v_mul_f64 v[92:93], v[56:57], v[188:189]
	s_waitcnt vmcnt(1) lgkmcnt(9)
	v_mul_f64 v[56:57], v[54:55], v[230:231]
	v_mul_f64 v[94:95], v[52:53], v[230:231]
	v_fma_f64 v[108:109], v[52:53], v[228:229], -v[56:57]
	v_fmac_f64_e32 v[94:95], v[54:55], v[228:229]
	v_pk_mov_b32 v[54:55], v[80:81], v[80:81] op_sel:[0,1]
	v_pk_mov_b32 v[56:57], v[82:83], v[82:83] op_sel:[0,1]
	s_waitcnt lgkmcnt(8)
	v_mul_f64 v[52:53], v[50:51], v[56:57]
	v_fma_f64 v[144:145], v[48:49], v[54:55], -v[52:53]
	v_mul_f64 v[82:83], v[48:49], v[56:57]
	s_waitcnt lgkmcnt(7)
	v_mul_f64 v[48:49], v[46:47], v[112:113]
	v_fma_f64 v[80:81], v[44:45], v[110:111], -v[48:49]
	v_mul_f64 v[98:99], v[44:45], v[112:113]
	s_waitcnt vmcnt(0) lgkmcnt(6)
	v_mul_f64 v[44:45], v[42:43], v[242:243]
	v_fma_f64 v[130:131], v[40:41], v[240:241], -v[44:45]
	v_mul_f64 v[86:87], v[40:41], v[242:243]
	v_add_co_u32_e32 v40, vcc, s10, v146
	v_addc_co_u32_e32 v41, vcc, 0, v147, vcc
	v_fmac_f64_e32 v[86:87], v[42:43], v[240:241]
	v_add_co_u32_e32 v42, vcc, s28, v146
	v_addc_co_u32_e32 v43, vcc, 0, v147, vcc
	v_fmac_f64_e32 v[82:83], v[50:51], v[54:55]
	v_fmac_f64_e32 v[98:99], v[46:47], v[110:111]
	global_load_dwordx4 v[198:201], v[42:43], off offset:2192
	global_load_dwordx4 v[44:47], v[40:41], off offset:48
	global_load_dwordx4 v[48:51], v[40:41], off offset:32
	global_load_dwordx4 v[252:255], v[40:41], off offset:16
	v_accvgpr_write_b32 a28, v110
	v_accvgpr_write_b32 a29, v111
	;; [unrolled: 1-line block ×8, first 2 shown]
	v_fmac_f64_e32 v[92:93], v[58:59], v[186:187]
	s_mov_b32 s10, 0xca80
	s_waitcnt vmcnt(3) lgkmcnt(4)
	v_mul_f64 v[40:41], v[38:39], v[200:201]
	v_fma_f64 v[110:111], v[36:37], v[198:199], -v[40:41]
	v_mul_f64 v[112:113], v[36:37], v[200:201]
	s_waitcnt vmcnt(0) lgkmcnt(3)
	v_mul_f64 v[36:37], v[138:139], v[254:255]
	v_fma_f64 v[146:147], v[136:137], v[252:253], -v[36:37]
	s_waitcnt lgkmcnt(2)
	v_mul_f64 v[36:37], v[206:207], v[50:51]
	v_mul_f64 v[102:103], v[204:205], v[50:51]
	v_fma_f64 v[152:153], v[204:205], v[48:49], -v[36:37]
	v_fmac_f64_e32 v[102:103], v[206:207], v[48:49]
	global_load_dwordx4 v[204:207], v[42:43], off offset:2256
	s_waitcnt lgkmcnt(1)
	v_mul_f64 v[36:37], v[26:27], v[46:47]
	v_mul_f64 v[114:115], v[136:137], v[254:255]
	v_fma_f64 v[136:137], v[24:25], v[44:45], -v[36:37]
	v_mul_f64 v[118:119], v[24:25], v[46:47]
	v_fmac_f64_e32 v[114:115], v[138:139], v[252:253]
	v_fmac_f64_e32 v[112:113], v[38:39], v[198:199]
	v_accvgpr_write_b32 a36, v44
	v_fmac_f64_e32 v[118:119], v[26:27], v[44:45]
	v_accvgpr_write_b32 a37, v45
	v_accvgpr_write_b32 a38, v46
	;; [unrolled: 1-line block ×7, first 2 shown]
	s_waitcnt vmcnt(0) lgkmcnt(0)
	v_mul_f64 v[106:107], v[20:21], v[206:207]
	v_mul_f64 v[24:25], v[22:23], v[206:207]
	v_fmac_f64_e32 v[106:107], v[22:23], v[204:205]
	v_add_f64 v[22:23], v[116:117], v[28:29]
	v_fma_f64 v[138:139], v[20:21], v[204:205], -v[24:25]
	v_add_f64 v[20:21], v[16:17], v[116:117]
	v_fmac_f64_e32 v[16:17], -0.5, v[22:23]
	v_add_f64 v[22:23], v[150:151], -v[158:159]
	v_add_f64 v[24:25], v[150:151], v[158:159]
	v_fma_f64 v[38:39], s[2:3], v[22:23], v[16:17]
	v_fmac_f64_e32 v[16:17], s[4:5], v[22:23]
	v_add_f64 v[22:23], v[18:19], v[150:151]
	v_fmac_f64_e32 v[18:19], -0.5, v[24:25]
	v_add_f64 v[24:25], v[116:117], -v[28:29]
	v_fma_f64 v[40:41], s[4:5], v[24:25], v[18:19]
	v_fmac_f64_e32 v[18:19], s[2:3], v[24:25]
	v_add_f64 v[24:25], v[30:31], v[128:129]
	v_add_f64 v[36:37], v[24:25], v[104:105]
	v_add_f64 v[24:25], v[128:129], v[104:105]
	v_fmac_f64_e32 v[30:31], -0.5, v[24:25]
	v_add_f64 v[24:25], v[34:35], -v[148:149]
	v_fma_f64 v[42:43], s[2:3], v[24:25], v[30:31]
	v_fmac_f64_e32 v[30:31], s[4:5], v[24:25]
	v_add_f64 v[24:25], v[32:33], v[34:35]
	v_add_f64 v[44:45], v[24:25], v[148:149]
	;; [unrolled: 1-line block ×3, first 2 shown]
	v_fmac_f64_e32 v[32:33], -0.5, v[24:25]
	v_add_f64 v[24:25], v[128:129], -v[104:105]
	v_fma_f64 v[34:35], s[4:5], v[24:25], v[32:33]
	v_fmac_f64_e32 v[32:33], s[2:3], v[24:25]
	v_mul_f64 v[46:47], v[34:35], s[2:3]
	v_mul_f64 v[50:51], v[32:33], -0.5
	v_add_f64 v[22:23], v[22:23], v[158:159]
	v_fmac_f64_e32 v[46:47], 0.5, v[42:43]
	v_mul_f64 v[48:49], v[30:31], -0.5
	v_mul_f64 v[42:43], v[42:43], s[4:5]
	v_fmac_f64_e32 v[50:51], s[4:5], v[30:31]
	v_add_f64 v[20:21], v[20:21], v[28:29]
	v_add_f64 v[56:57], v[38:39], v[46:47]
	v_fmac_f64_e32 v[48:49], s[2:3], v[32:33]
	v_add_f64 v[26:27], v[22:23], v[44:45]
	v_fmac_f64_e32 v[42:43], 0.5, v[34:35]
	v_add_f64 v[30:31], v[18:19], v[50:51]
	v_add_f64 v[32:33], v[38:39], -v[46:47]
	v_add_f64 v[38:39], v[22:23], -v[44:45]
	;; [unrolled: 1-line block ×3, first 2 shown]
	v_add_f64 v[18:19], v[96:97], v[88:89]
	v_add_f64 v[24:25], v[20:21], v[36:37]
	;; [unrolled: 1-line block ×4, first 2 shown]
	v_add_f64 v[36:37], v[20:21], -v[36:37]
	v_add_f64 v[20:21], v[16:17], -v[48:49]
	;; [unrolled: 1-line block ×3, first 2 shown]
	v_add_f64 v[16:17], v[12:13], v[96:97]
	v_fmac_f64_e32 v[12:13], -0.5, v[18:19]
	v_add_f64 v[18:19], v[142:143], -v[140:141]
	v_add_f64 v[40:41], v[142:143], v[140:141]
	v_fma_f64 v[52:53], s[2:3], v[18:19], v[12:13]
	v_fmac_f64_e32 v[12:13], s[4:5], v[18:19]
	v_add_f64 v[18:19], v[14:15], v[142:143]
	v_fmac_f64_e32 v[14:15], -0.5, v[40:41]
	v_add_f64 v[40:41], v[96:97], -v[88:89]
	v_fma_f64 v[54:55], s[4:5], v[40:41], v[14:15]
	v_fmac_f64_e32 v[14:15], s[2:3], v[40:41]
	v_add_f64 v[40:41], v[124:125], v[100:101]
	v_add_f64 v[62:63], v[40:41], v[84:85]
	v_add_f64 v[40:41], v[100:101], v[84:85]
	v_fmac_f64_e32 v[124:125], -0.5, v[40:41]
	v_add_f64 v[40:41], v[134:135], -v[132:133]
	v_fma_f64 v[42:43], s[2:3], v[40:41], v[124:125]
	v_fmac_f64_e32 v[124:125], s[4:5], v[40:41]
	v_add_f64 v[40:41], v[126:127], v[134:135]
	v_add_f64 v[66:67], v[40:41], v[132:133]
	;; [unrolled: 1-line block ×3, first 2 shown]
	v_fmac_f64_e32 v[126:127], -0.5, v[40:41]
	v_add_f64 v[40:41], v[100:101], -v[84:85]
	v_fma_f64 v[50:51], s[4:5], v[40:41], v[126:127]
	v_add_f64 v[16:17], v[16:17], v[88:89]
	v_mul_f64 v[84:85], v[50:51], s[2:3]
	v_add_f64 v[44:45], v[16:17], v[62:63]
	v_fmac_f64_e32 v[84:85], 0.5, v[42:43]
	v_add_f64 v[16:17], v[16:17], -v[62:63]
	v_add_f64 v[62:63], v[0:1], v[78:79]
	v_fmac_f64_e32 v[126:127], s[2:3], v[40:41]
	v_add_f64 v[40:41], v[52:53], v[84:85]
	v_mul_f64 v[88:89], v[124:125], -0.5
	v_add_f64 v[52:53], v[52:53], -v[84:85]
	v_add_f64 v[84:85], v[62:63], v[70:71]
	v_add_f64 v[62:63], v[78:79], v[70:71]
	v_fmac_f64_e32 v[88:89], s[2:3], v[126:127]
	v_mul_f64 v[96:97], v[42:43], s[4:5]
	v_fmac_f64_e32 v[0:1], -0.5, v[62:63]
	v_add_f64 v[62:63], v[122:123], -v[74:75]
	v_add_f64 v[48:49], v[12:13], v[88:89]
	v_fmac_f64_e32 v[96:97], 0.5, v[50:51]
	v_add_f64 v[12:13], v[12:13], -v[88:89]
	v_fma_f64 v[88:89], s[2:3], v[62:63], v[0:1]
	v_fmac_f64_e32 v[0:1], s[4:5], v[62:63]
	v_add_f64 v[62:63], v[2:3], v[122:123]
	v_add_f64 v[42:43], v[54:55], v[96:97]
	v_add_f64 v[54:55], v[54:55], -v[96:97]
	v_add_f64 v[96:97], v[62:63], v[74:75]
	v_add_f64 v[62:63], v[122:123], v[74:75]
	v_fmac_f64_e32 v[2:3], -0.5, v[62:63]
	v_add_f64 v[62:63], v[78:79], -v[70:71]
	v_fma_f64 v[74:75], s[4:5], v[62:63], v[2:3]
	v_fmac_f64_e32 v[2:3], s[2:3], v[62:63]
	v_add_f64 v[62:63], v[120:121], v[72:73]
	v_add_f64 v[78:79], v[62:63], v[64:65]
	;; [unrolled: 1-line block ×3, first 2 shown]
	v_mul_f64 v[100:101], v[126:127], -0.5
	v_fmac_f64_e32 v[120:121], -0.5, v[62:63]
	v_add_f64 v[62:63], v[68:69], -v[60:61]
	v_fmac_f64_e32 v[100:101], s[4:5], v[124:125]
	v_fma_f64 v[70:71], s[2:3], v[62:63], v[120:121]
	v_fmac_f64_e32 v[120:121], s[4:5], v[62:63]
	v_add_f64 v[62:63], v[76:77], v[68:69]
	v_add_f64 v[50:51], v[14:15], v[100:101]
	v_add_f64 v[14:15], v[14:15], -v[100:101]
	v_add_f64 v[100:101], v[62:63], v[60:61]
	v_add_f64 v[60:61], v[68:69], v[60:61]
	v_fmac_f64_e32 v[76:77], -0.5, v[60:61]
	v_add_f64 v[60:61], v[72:73], -v[64:65]
	v_fma_f64 v[62:63], s[4:5], v[60:61], v[76:77]
	v_fmac_f64_e32 v[76:77], s[2:3], v[60:61]
	v_mul_f64 v[104:105], v[120:121], -0.5
	v_add_f64 v[18:19], v[18:19], v[140:141]
	v_add_f64 v[64:65], v[84:85], v[78:79]
	v_fmac_f64_e32 v[104:105], s[2:3], v[76:77]
	v_mul_f64 v[122:123], v[76:77], -0.5
	v_add_f64 v[76:77], v[84:85], -v[78:79]
	v_add_f64 v[84:85], v[4:5], v[108:109]
	v_add_f64 v[46:47], v[18:19], v[66:67]
	v_add_f64 v[18:19], v[18:19], -v[66:67]
	v_add_f64 v[66:67], v[96:97], v[100:101]
	v_add_f64 v[78:79], v[96:97], -v[100:101]
	v_add_f64 v[96:97], v[84:85], v[80:81]
	v_add_f64 v[84:85], v[108:109], v[80:81]
	v_fmac_f64_e32 v[4:5], -0.5, v[84:85]
	v_add_f64 v[84:85], v[94:95], -v[98:99]
	v_fma_f64 v[100:101], s[2:3], v[84:85], v[4:5]
	v_fmac_f64_e32 v[4:5], s[4:5], v[84:85]
	v_add_f64 v[84:85], v[6:7], v[94:95]
	v_add_f64 v[68:69], v[0:1], v[104:105]
	v_add_f64 v[0:1], v[0:1], -v[104:105]
	v_add_f64 v[104:105], v[84:85], v[98:99]
	v_add_f64 v[84:85], v[94:95], v[98:99]
	v_fmac_f64_e32 v[6:7], -0.5, v[84:85]
	v_add_f64 v[80:81], v[108:109], -v[80:81]
	v_fma_f64 v[94:95], s[4:5], v[80:81], v[6:7]
	v_fmac_f64_e32 v[6:7], s[2:3], v[80:81]
	v_add_f64 v[80:81], v[90:91], v[144:145]
	v_add_f64 v[98:99], v[80:81], v[130:131]
	;; [unrolled: 1-line block ×3, first 2 shown]
	v_mul_f64 v[116:117], v[70:71], s[4:5]
	v_fmac_f64_e32 v[90:91], -0.5, v[80:81]
	v_add_f64 v[80:81], v[82:83], -v[86:87]
	v_fmac_f64_e32 v[116:117], 0.5, v[62:63]
	v_fma_f64 v[108:109], s[2:3], v[80:81], v[90:91]
	v_fmac_f64_e32 v[90:91], s[4:5], v[80:81]
	v_add_f64 v[80:81], v[92:93], v[82:83]
	v_mul_f64 v[72:73], v[62:63], s[2:3]
	v_add_f64 v[62:63], v[74:75], v[116:117]
	v_add_f64 v[74:75], v[74:75], -v[116:117]
	v_add_f64 v[116:117], v[80:81], v[86:87]
	v_add_f64 v[80:81], v[82:83], v[86:87]
	v_fmac_f64_e32 v[92:93], -0.5, v[80:81]
	v_add_f64 v[80:81], v[144:145], -v[130:131]
	v_fma_f64 v[82:83], s[4:5], v[80:81], v[92:93]
	v_fmac_f64_e32 v[122:123], s[4:5], v[120:121]
	v_mul_f64 v[120:121], v[82:83], s[2:3]
	v_fmac_f64_e32 v[72:73], 0.5, v[70:71]
	v_add_f64 v[70:71], v[2:3], v[122:123]
	v_add_f64 v[2:3], v[2:3], -v[122:123]
	v_fmac_f64_e32 v[92:93], s[2:3], v[80:81]
	v_fmac_f64_e32 v[120:121], 0.5, v[108:109]
	v_mul_f64 v[122:123], v[90:91], -0.5
	v_add_f64 v[80:81], v[100:101], v[120:121]
	v_fmac_f64_e32 v[122:123], s[2:3], v[92:93]
	v_mul_f64 v[124:125], v[92:93], -0.5
	v_add_f64 v[92:93], v[100:101], -v[120:121]
	v_add_f64 v[100:101], v[8:9], v[146:147]
	v_add_f64 v[84:85], v[96:97], v[98:99]
	;; [unrolled: 1-line block ×3, first 2 shown]
	v_add_f64 v[96:97], v[96:97], -v[98:99]
	v_add_f64 v[98:99], v[104:105], -v[116:117]
	v_add_f64 v[116:117], v[100:101], v[136:137]
	v_add_f64 v[100:101], v[146:147], v[136:137]
	v_fmac_f64_e32 v[8:9], -0.5, v[100:101]
	v_add_f64 v[100:101], v[114:115], -v[118:119]
	v_fma_f64 v[120:121], s[2:3], v[100:101], v[8:9]
	v_fmac_f64_e32 v[8:9], s[4:5], v[100:101]
	v_add_f64 v[100:101], v[10:11], v[114:115]
	v_add_f64 v[60:61], v[88:89], v[72:73]
	v_add_f64 v[72:73], v[88:89], -v[72:73]
	v_add_f64 v[88:89], v[4:5], v[122:123]
	v_add_f64 v[4:5], v[4:5], -v[122:123]
	v_add_f64 v[122:123], v[100:101], v[118:119]
	v_add_f64 v[100:101], v[114:115], v[118:119]
	v_fmac_f64_e32 v[10:11], -0.5, v[100:101]
	v_add_f64 v[100:101], v[146:147], -v[136:137]
	v_fma_f64 v[114:115], s[4:5], v[100:101], v[10:11]
	v_fmac_f64_e32 v[10:11], s[2:3], v[100:101]
	v_add_f64 v[100:101], v[110:111], v[152:153]
	v_add_f64 v[118:119], v[100:101], v[138:139]
	;; [unrolled: 1-line block ×3, first 2 shown]
	v_fmac_f64_e32 v[124:125], s[4:5], v[90:91]
	v_fmac_f64_e32 v[110:111], -0.5, v[100:101]
	v_add_f64 v[100:101], v[102:103], -v[106:107]
	v_add_f64 v[90:91], v[6:7], v[124:125]
	v_add_f64 v[6:7], v[6:7], -v[124:125]
	v_fma_f64 v[124:125], s[2:3], v[100:101], v[110:111]
	v_fmac_f64_e32 v[110:111], s[4:5], v[100:101]
	v_add_f64 v[100:101], v[112:113], v[102:103]
	v_add_f64 v[126:127], v[100:101], v[106:107]
	;; [unrolled: 1-line block ×3, first 2 shown]
	v_fmac_f64_e32 v[112:113], -0.5, v[100:101]
	v_add_f64 v[100:101], v[152:153], -v[138:139]
	v_fma_f64 v[102:103], s[4:5], v[100:101], v[112:113]
	v_fmac_f64_e32 v[112:113], s[2:3], v[100:101]
	v_mul_f64 v[128:129], v[102:103], s[2:3]
	v_mul_f64 v[108:109], v[108:109], s[4:5]
	v_fmac_f64_e32 v[128:129], 0.5, v[124:125]
	v_mul_f64 v[130:131], v[110:111], -0.5
	v_mul_f64 v[124:125], v[124:125], s[4:5]
	v_mul_f64 v[132:133], v[112:113], -0.5
	v_fmac_f64_e32 v[108:109], 0.5, v[82:83]
	v_fmac_f64_e32 v[130:131], s[2:3], v[112:113]
	v_fmac_f64_e32 v[124:125], 0.5, v[102:103]
	v_fmac_f64_e32 v[132:133], s[4:5], v[110:111]
	v_add_f64 v[82:83], v[94:95], v[108:109]
	v_add_f64 v[94:95], v[94:95], -v[108:109]
	v_add_f64 v[104:105], v[116:117], v[118:119]
	v_add_f64 v[100:101], v[120:121], v[128:129]
	v_add_f64 v[108:109], v[8:9], v[130:131]
	v_add_f64 v[106:107], v[122:123], v[126:127]
	v_add_f64 v[102:103], v[114:115], v[124:125]
	v_add_f64 v[110:111], v[10:11], v[132:133]
	v_add_f64 v[116:117], v[116:117], -v[118:119]
	v_add_f64 v[112:113], v[120:121], -v[128:129]
	;; [unrolled: 1-line block ×6, first 2 shown]
	ds_write_b128 v197, v[24:27]
	ds_write_b128 v197, v[56:59] offset:8640
	ds_write_b128 v197, v[28:31] offset:17280
	;; [unrolled: 1-line block ×29, first 2 shown]
	v_accvgpr_read_b32 v4, a52
	v_accvgpr_read_b32 v5, a53
	s_waitcnt lgkmcnt(0)
	s_barrier
	global_load_dwordx4 v[4:7], v[4:5], off offset:2688
	ds_read_b128 v[0:3], v197
	v_add_co_u32_e32 v14, vcc, s10, v166
	v_addc_co_u32_e32 v15, vcc, 0, v167, vcc
	s_mov_b32 s10, 0x10000
	s_waitcnt vmcnt(0) lgkmcnt(0)
	v_mul_f64 v[8:9], v[2:3], v[6:7]
	v_fma_f64 v[8:9], v[0:1], v[4:5], -v[8:9]
	v_mul_f64 v[10:11], v[0:1], v[6:7]
	v_add_co_u32_e32 v0, vcc, s10, v166
	v_fmac_f64_e32 v[10:11], v[2:3], v[4:5]
	v_addc_co_u32_e32 v1, vcc, 0, v167, vcc
	ds_write_b128 v197, v[8:11]
	global_load_dwordx4 v[6:9], v[0:1], off offset:3584
	ds_read_b128 v[2:5], v197 offset:17280
	s_mov_b32 s10, 0x15000
	v_add_co_u32_e32 v16, vcc, s10, v166
	v_addc_co_u32_e32 v17, vcc, 0, v167, vcc
	s_mov_b32 s10, 0x11000
	v_add_co_u32_e32 v18, vcc, s10, v166
	v_addc_co_u32_e32 v19, vcc, 0, v167, vcc
	s_mov_b32 s10, 0xd000
	s_waitcnt vmcnt(0) lgkmcnt(0)
	v_mul_f64 v[10:11], v[4:5], v[8:9]
	v_mul_f64 v[12:13], v[2:3], v[8:9]
	v_fma_f64 v[10:11], v[2:3], v[6:7], -v[10:11]
	v_fmac_f64_e32 v[12:13], v[4:5], v[6:7]
	global_load_dwordx4 v[6:9], v[16:17], off offset:384
	ds_read_b128 v[2:5], v197 offset:34560
	ds_write_b128 v197, v[10:13] offset:17280
	s_waitcnt vmcnt(0) lgkmcnt(1)
	v_mul_f64 v[10:11], v[4:5], v[8:9]
	v_mul_f64 v[12:13], v[2:3], v[8:9]
	v_fma_f64 v[10:11], v[2:3], v[6:7], -v[10:11]
	v_fmac_f64_e32 v[12:13], v[4:5], v[6:7]
	global_load_dwordx4 v[6:9], v[14:15], off offset:1728
	ds_read_b128 v[2:5], v197 offset:1728
	ds_write_b128 v197, v[10:13] offset:34560
	;; [unrolled: 8-line block ×7, first 2 shown]
	s_waitcnt vmcnt(0) lgkmcnt(1)
	v_mul_f64 v[10:11], v[4:5], v[8:9]
	v_mul_f64 v[12:13], v[2:3], v[8:9]
	v_fma_f64 v[10:11], v[2:3], v[6:7], -v[10:11]
	v_fmac_f64_e32 v[12:13], v[4:5], v[6:7]
	v_add_co_u32_e32 v6, vcc, s10, v166
	v_addc_co_u32_e32 v7, vcc, 0, v167, vcc
	global_load_dwordx4 v[6:9], v[6:7], off offset:3776
	ds_read_b128 v[2:5], v197 offset:5184
	s_mov_b32 s10, 0x12000
	v_add_co_u32_e32 v14, vcc, s10, v166
	ds_write_b128 v197, v[10:13] offset:38016
	v_addc_co_u32_e32 v15, vcc, 0, v167, vcc
	s_mov_b32 s10, 0x16000
	v_add_co_u32_e32 v16, vcc, s10, v166
	v_addc_co_u32_e32 v17, vcc, 0, v167, vcc
	s_mov_b32 s10, 0xe000
	v_add_co_u32_e32 v18, vcc, s10, v166
	v_addc_co_u32_e32 v19, vcc, 0, v167, vcc
	s_mov_b32 s10, 0x17000
	s_waitcnt vmcnt(0) lgkmcnt(1)
	v_mul_f64 v[10:11], v[4:5], v[8:9]
	v_mul_f64 v[12:13], v[2:3], v[8:9]
	v_fma_f64 v[10:11], v[2:3], v[6:7], -v[10:11]
	v_fmac_f64_e32 v[12:13], v[4:5], v[6:7]
	global_load_dwordx4 v[6:9], v[14:15], off offset:576
	ds_read_b128 v[2:5], v197 offset:22464
	ds_write_b128 v197, v[10:13] offset:5184
	s_waitcnt vmcnt(0) lgkmcnt(1)
	v_mul_f64 v[10:11], v[4:5], v[8:9]
	v_mul_f64 v[12:13], v[2:3], v[8:9]
	v_fma_f64 v[10:11], v[2:3], v[6:7], -v[10:11]
	v_fmac_f64_e32 v[12:13], v[4:5], v[6:7]
	global_load_dwordx4 v[6:9], v[16:17], off offset:1472
	ds_read_b128 v[2:5], v197 offset:39744
	ds_write_b128 v197, v[10:13] offset:22464
	;; [unrolled: 8-line block ×6, first 2 shown]
	s_waitcnt vmcnt(0) lgkmcnt(1)
	v_mul_f64 v[10:11], v[4:5], v[8:9]
	v_mul_f64 v[12:13], v[2:3], v[8:9]
	v_fma_f64 v[10:11], v[2:3], v[6:7], -v[10:11]
	v_fmac_f64_e32 v[12:13], v[4:5], v[6:7]
	global_load_dwordx4 v[6:9], v[14:15], off offset:4032
	ds_read_b128 v[2:5], v197 offset:25920
	v_add_co_u32_e32 v14, vcc, s10, v166
	ds_write_b128 v197, v[10:13] offset:8640
	v_addc_co_u32_e32 v15, vcc, 0, v167, vcc
	s_mov_b32 s10, 0xf000
	v_add_co_u32_e32 v16, vcc, s10, v166
	v_addc_co_u32_e32 v17, vcc, 0, v167, vcc
	s_mov_b32 s10, 0x13000
	v_add_co_u32_e32 v18, vcc, s10, v166
	v_addc_co_u32_e32 v19, vcc, 0, v167, vcc
	s_mov_b32 s10, 0x18000
	s_waitcnt vmcnt(0) lgkmcnt(1)
	v_mul_f64 v[10:11], v[4:5], v[8:9]
	v_mul_f64 v[12:13], v[2:3], v[8:9]
	v_fma_f64 v[10:11], v[2:3], v[6:7], -v[10:11]
	v_fmac_f64_e32 v[12:13], v[4:5], v[6:7]
	global_load_dwordx4 v[6:9], v[14:15], off offset:832
	ds_read_b128 v[2:5], v197 offset:43200
	ds_write_b128 v197, v[10:13] offset:25920
	s_waitcnt vmcnt(0) lgkmcnt(1)
	v_mul_f64 v[10:11], v[4:5], v[8:9]
	v_mul_f64 v[12:13], v[2:3], v[8:9]
	v_fma_f64 v[10:11], v[2:3], v[6:7], -v[10:11]
	v_fmac_f64_e32 v[12:13], v[4:5], v[6:7]
	global_load_dwordx4 v[6:9], v[16:17], off offset:768
	ds_read_b128 v[2:5], v197 offset:10368
	ds_write_b128 v197, v[10:13] offset:43200
	;; [unrolled: 8-line block ×6, first 2 shown]
	s_waitcnt vmcnt(0) lgkmcnt(1)
	v_mul_f64 v[12:13], v[2:3], v[8:9]
	v_mul_f64 v[10:11], v[4:5], v[8:9]
	v_fmac_f64_e32 v[12:13], v[4:5], v[6:7]
	v_add_co_u32_e32 v4, vcc, s10, v166
	v_fma_f64 v[10:11], v[2:3], v[6:7], -v[10:11]
	v_addc_co_u32_e32 v5, vcc, 0, v167, vcc
	ds_write_b128 v197, v[10:13] offset:29376
	global_load_dwordx4 v[10:13], v[4:5], off offset:192
	ds_read_b128 v[6:9], v197 offset:46656
	s_mov_b32 s10, 0x14000
	v_add_co_u32_e32 v18, vcc, s10, v166
	v_addc_co_u32_e32 v19, vcc, 0, v167, vcc
	s_waitcnt vmcnt(0) lgkmcnt(0)
	v_mul_f64 v[2:3], v[8:9], v[12:13]
	v_mul_f64 v[16:17], v[6:7], v[12:13]
	v_fma_f64 v[14:15], v[6:7], v[10:11], -v[2:3]
	v_fmac_f64_e32 v[16:17], v[8:9], v[10:11]
	global_load_dwordx4 v[10:13], v[0:1], off offset:128
	ds_read_b128 v[6:9], v197 offset:13824
	ds_write_b128 v197, v[14:17] offset:46656
	s_waitcnt vmcnt(0) lgkmcnt(1)
	v_mul_f64 v[2:3], v[8:9], v[12:13]
	v_mul_f64 v[16:17], v[6:7], v[12:13]
	v_fma_f64 v[14:15], v[6:7], v[10:11], -v[2:3]
	v_fmac_f64_e32 v[16:17], v[8:9], v[10:11]
	global_load_dwordx4 v[10:13], v[18:19], off offset:1024
	ds_read_b128 v[6:9], v197 offset:31104
	ds_write_b128 v197, v[14:17] offset:13824
	;; [unrolled: 8-line block ×3, first 2 shown]
	s_waitcnt vmcnt(0) lgkmcnt(1)
	v_mul_f64 v[2:3], v[8:9], v[12:13]
	v_fma_f64 v[14:15], v[6:7], v[10:11], -v[2:3]
	global_load_dwordx4 v[0:3], v[0:1], off offset:1856
	v_mul_f64 v[16:17], v[6:7], v[12:13]
	v_fmac_f64_e32 v[16:17], v[8:9], v[10:11]
	ds_read_b128 v[6:9], v197 offset:15552
	ds_write_b128 v197, v[14:17] offset:48384
	s_waitcnt vmcnt(0) lgkmcnt(1)
	v_mul_f64 v[10:11], v[8:9], v[2:3]
	v_mul_f64 v[12:13], v[6:7], v[2:3]
	v_fma_f64 v[10:11], v[6:7], v[0:1], -v[10:11]
	v_fmac_f64_e32 v[12:13], v[8:9], v[0:1]
	global_load_dwordx4 v[6:9], v[18:19], off offset:2752
	ds_read_b128 v[0:3], v197 offset:32832
	ds_write_b128 v197, v[10:13] offset:15552
	s_waitcnt vmcnt(0) lgkmcnt(1)
	v_mul_f64 v[10:11], v[2:3], v[8:9]
	v_mul_f64 v[12:13], v[0:1], v[8:9]
	v_fma_f64 v[10:11], v[0:1], v[6:7], -v[10:11]
	v_fmac_f64_e32 v[12:13], v[2:3], v[6:7]
	global_load_dwordx4 v[4:7], v[4:5], off offset:3648
	ds_read_b128 v[0:3], v197 offset:50112
	ds_write_b128 v197, v[10:13] offset:32832
	s_waitcnt vmcnt(0) lgkmcnt(1)
	v_mul_f64 v[8:9], v[2:3], v[6:7]
	v_mul_f64 v[10:11], v[0:1], v[6:7]
	v_fma_f64 v[8:9], v[0:1], v[4:5], -v[8:9]
	v_fmac_f64_e32 v[10:11], v[2:3], v[4:5]
	ds_write_b128 v197, v[8:11] offset:50112
	s_waitcnt lgkmcnt(0)
	s_barrier
	ds_read_b128 v[36:39], v197
	ds_read_b128 v[96:99], v197 offset:17280
	ds_read_b128 v[100:103], v197 offset:34560
	;; [unrolled: 1-line block ×29, first 2 shown]
	s_waitcnt lgkmcnt(14)
	v_add_f64 v[122:123], v[96:97], v[100:101]
	v_add_f64 v[120:121], v[36:37], v[96:97]
	v_fmac_f64_e32 v[36:37], -0.5, v[122:123]
	v_add_f64 v[122:123], v[98:99], -v[102:103]
	v_fma_f64 v[124:125], s[4:5], v[122:123], v[36:37]
	v_fmac_f64_e32 v[36:37], s[2:3], v[122:123]
	v_add_f64 v[122:123], v[38:39], v[98:99]
	v_add_f64 v[98:99], v[98:99], v[102:103]
	v_fmac_f64_e32 v[38:39], -0.5, v[98:99]
	v_add_f64 v[96:97], v[96:97], -v[100:101]
	v_fma_f64 v[126:127], s[2:3], v[96:97], v[38:39]
	v_fmac_f64_e32 v[38:39], s[4:5], v[96:97]
	v_add_f64 v[96:97], v[32:33], v[112:113]
	v_add_f64 v[120:121], v[120:121], v[100:101]
	v_add_f64 v[100:101], v[96:97], v[116:117]
	v_add_f64 v[96:97], v[112:113], v[116:117]
	v_fmac_f64_e32 v[32:33], -0.5, v[96:97]
	v_add_f64 v[98:99], v[114:115], -v[118:119]
	v_fma_f64 v[96:97], s[4:5], v[98:99], v[32:33]
	v_fmac_f64_e32 v[32:33], s[2:3], v[98:99]
	v_add_f64 v[98:99], v[34:35], v[114:115]
	v_add_f64 v[122:123], v[122:123], v[102:103]
	v_add_f64 v[102:103], v[98:99], v[118:119]
	v_add_f64 v[98:99], v[114:115], v[118:119]
	v_fmac_f64_e32 v[34:35], -0.5, v[98:99]
	v_add_f64 v[112:113], v[112:113], -v[116:117]
	v_fma_f64 v[98:99], s[2:3], v[112:113], v[34:35]
	v_fmac_f64_e32 v[34:35], s[4:5], v[112:113]
	v_add_f64 v[112:113], v[28:29], v[88:89]
	v_add_f64 v[116:117], v[112:113], v[92:93]
	v_add_f64 v[112:113], v[88:89], v[92:93]
	v_fmac_f64_e32 v[28:29], -0.5, v[112:113]
	v_add_f64 v[114:115], v[90:91], -v[94:95]
	v_fma_f64 v[112:113], s[4:5], v[114:115], v[28:29]
	v_fmac_f64_e32 v[28:29], s[2:3], v[114:115]
	v_add_f64 v[114:115], v[30:31], v[90:91]
	v_add_f64 v[90:91], v[90:91], v[94:95]
	v_fmac_f64_e32 v[30:31], -0.5, v[90:91]
	v_add_f64 v[88:89], v[88:89], -v[92:93]
	v_add_f64 v[90:91], v[104:105], v[108:109]
	v_add_f64 v[118:119], v[114:115], v[94:95]
	v_fma_f64 v[114:115], s[2:3], v[88:89], v[30:31]
	v_fmac_f64_e32 v[30:31], s[4:5], v[88:89]
	v_add_f64 v[88:89], v[24:25], v[104:105]
	v_fmac_f64_e32 v[24:25], -0.5, v[90:91]
	v_add_f64 v[90:91], v[106:107], -v[110:111]
	v_add_f64 v[94:95], v[106:107], v[110:111]
	v_fma_f64 v[92:93], s[4:5], v[90:91], v[24:25]
	v_fmac_f64_e32 v[24:25], s[2:3], v[90:91]
	v_add_f64 v[90:91], v[26:27], v[106:107]
	v_fmac_f64_e32 v[26:27], -0.5, v[94:95]
	v_add_f64 v[104:105], v[104:105], -v[108:109]
	v_fma_f64 v[94:95], s[2:3], v[104:105], v[26:27]
	v_fmac_f64_e32 v[26:27], s[4:5], v[104:105]
	v_add_f64 v[104:105], v[20:21], v[80:81]
	v_add_f64 v[88:89], v[88:89], v[108:109]
	;; [unrolled: 1-line block ×4, first 2 shown]
	v_fmac_f64_e32 v[20:21], -0.5, v[104:105]
	v_add_f64 v[106:107], v[82:83], -v[86:87]
	v_fma_f64 v[104:105], s[4:5], v[106:107], v[20:21]
	v_fmac_f64_e32 v[20:21], s[2:3], v[106:107]
	v_add_f64 v[106:107], v[22:23], v[82:83]
	v_add_f64 v[82:83], v[82:83], v[86:87]
	v_fmac_f64_e32 v[22:23], -0.5, v[82:83]
	v_add_f64 v[80:81], v[80:81], -v[84:85]
	v_add_f64 v[90:91], v[90:91], v[110:111]
	v_add_f64 v[110:111], v[106:107], v[86:87]
	v_fma_f64 v[106:107], s[2:3], v[80:81], v[22:23]
	v_fmac_f64_e32 v[22:23], s[4:5], v[80:81]
	s_waitcnt lgkmcnt(13)
	v_add_f64 v[80:81], v[16:17], v[72:73]
	s_waitcnt lgkmcnt(12)
	v_add_f64 v[84:85], v[80:81], v[76:77]
	v_add_f64 v[80:81], v[72:73], v[76:77]
	v_fmac_f64_e32 v[16:17], -0.5, v[80:81]
	v_add_f64 v[82:83], v[74:75], -v[78:79]
	v_fma_f64 v[80:81], s[4:5], v[82:83], v[16:17]
	v_fmac_f64_e32 v[16:17], s[2:3], v[82:83]
	v_add_f64 v[82:83], v[18:19], v[74:75]
	v_add_f64 v[74:75], v[74:75], v[78:79]
	v_fmac_f64_e32 v[18:19], -0.5, v[74:75]
	v_add_f64 v[72:73], v[72:73], -v[76:77]
	v_add_f64 v[86:87], v[82:83], v[78:79]
	v_fma_f64 v[82:83], s[2:3], v[72:73], v[18:19]
	v_fmac_f64_e32 v[18:19], s[4:5], v[72:73]
	s_waitcnt lgkmcnt(10)
	v_add_f64 v[72:73], v[12:13], v[64:65]
	s_waitcnt lgkmcnt(9)
	v_add_f64 v[76:77], v[72:73], v[68:69]
	v_add_f64 v[72:73], v[64:65], v[68:69]
	v_fmac_f64_e32 v[12:13], -0.5, v[72:73]
	v_add_f64 v[74:75], v[66:67], -v[70:71]
	v_fma_f64 v[72:73], s[4:5], v[74:75], v[12:13]
	v_fmac_f64_e32 v[12:13], s[2:3], v[74:75]
	v_add_f64 v[74:75], v[14:15], v[66:67]
	v_add_f64 v[66:67], v[66:67], v[70:71]
	v_fmac_f64_e32 v[14:15], -0.5, v[66:67]
	v_add_f64 v[64:65], v[64:65], -v[68:69]
	;; [unrolled: 16-line block ×5, first 2 shown]
	v_add_f64 v[54:55], v[50:51], v[46:47]
	v_fma_f64 v[50:51], s[2:3], v[40:41], v[2:3]
	v_fmac_f64_e32 v[2:3], s[4:5], v[40:41]
	s_barrier
	buffer_load_dword v40, off, s[36:39], 0 offset:12 ; 4-byte Folded Reload
	s_waitcnt vmcnt(0)
	ds_write_b128 v40, v[120:123]
	ds_write_b128 v40, v[124:127] offset:16
	ds_write_b128 v40, v[36:39] offset:32
	buffer_load_dword v36, off, s[36:39], 0 offset:20 ; 4-byte Folded Reload
	s_waitcnt vmcnt(0)
	ds_write_b128 v36, v[100:103]
	ds_write_b128 v36, v[96:99] offset:16
	ds_write_b128 v36, v[32:35] offset:32
	buffer_load_dword v32, off, s[36:39], 0 offset:48 ; 4-byte Folded Reload
	s_waitcnt vmcnt(0)
	ds_write_b128 v32, v[116:119]
	ds_write_b128 v32, v[112:115] offset:16
	ds_write_b128 v32, v[28:31] offset:32
	buffer_load_dword v28, off, s[36:39], 0 offset:44 ; 4-byte Folded Reload
	s_waitcnt vmcnt(0)
	ds_write_b128 v28, v[88:91]
	ds_write_b128 v28, v[92:95] offset:16
	ds_write_b128 v28, v[24:27] offset:32
	buffer_load_dword v24, off, s[36:39], 0 offset:8 ; 4-byte Folded Reload
	s_waitcnt vmcnt(0)
	ds_write_b128 v24, v[108:111]
	ds_write_b128 v24, v[104:107] offset:16
	ds_write_b128 v24, v[20:23] offset:32
	buffer_load_dword v20, off, s[36:39], 0 offset:32 ; 4-byte Folded Reload
	s_waitcnt vmcnt(0)
	ds_write_b128 v20, v[84:87]
	ds_write_b128 v20, v[80:83] offset:16
	ds_write_b128 v20, v[16:19] offset:32
	buffer_load_dword v16, off, s[36:39], 0 offset:28 ; 4-byte Folded Reload
	s_waitcnt vmcnt(0)
	ds_write_b128 v16, v[76:79]
	ds_write_b128 v16, v[72:75] offset:16
	ds_write_b128 v16, v[12:15] offset:32
	buffer_load_dword v12, off, s[36:39], 0 offset:16 ; 4-byte Folded Reload
	s_waitcnt vmcnt(0)
	ds_write_b128 v12, v[68:71]
	ds_write_b128 v12, v[64:67] offset:16
	ds_write_b128 v12, v[8:11] offset:32
	buffer_load_dword v8, off, s[36:39], 0 offset:4 ; 4-byte Folded Reload
	s_waitcnt vmcnt(0)
	ds_write_b128 v8, v[60:63]
	ds_write_b128 v8, v[56:59] offset:16
	ds_write_b128 v8, v[4:7] offset:32
	buffer_load_dword v4, off, s[36:39], 0  ; 4-byte Folded Reload
	s_waitcnt vmcnt(0)
	ds_write_b128 v4, v[52:55]
	ds_write_b128 v4, v[48:51] offset:16
	ds_write_b128 v4, v[0:3] offset:32
	s_waitcnt lgkmcnt(0)
	s_barrier
	ds_read_b128 v[0:3], v197
	ds_read_b128 v[116:119], v197 offset:17280
	ds_read_b128 v[112:115], v197 offset:34560
	;; [unrolled: 1-line block ×29, first 2 shown]
	buffer_load_dword v122, off, s[36:39], 0 offset:572 ; 4-byte Folded Reload
	buffer_load_dword v123, off, s[36:39], 0 offset:576 ; 4-byte Folded Reload
	;; [unrolled: 1-line block ×4, first 2 shown]
	s_waitcnt vmcnt(0) lgkmcnt(14)
	v_mul_f64 v[120:121], v[124:125], v[118:119]
	v_fmac_f64_e32 v[120:121], v[122:123], v[116:117]
	v_mul_f64 v[116:117], v[124:125], v[116:117]
	v_fma_f64 v[116:117], v[122:123], v[118:119], -v[116:117]
	buffer_load_dword v122, off, s[36:39], 0 offset:556 ; 4-byte Folded Reload
	buffer_load_dword v123, off, s[36:39], 0 offset:560 ; 4-byte Folded Reload
	buffer_load_dword v124, off, s[36:39], 0 offset:564 ; 4-byte Folded Reload
	buffer_load_dword v125, off, s[36:39], 0 offset:568 ; 4-byte Folded Reload
	s_waitcnt vmcnt(0)
	v_mul_f64 v[118:119], v[124:125], v[114:115]
	v_fmac_f64_e32 v[118:119], v[122:123], v[112:113]
	v_mul_f64 v[112:113], v[124:125], v[112:113]
	v_fma_f64 v[112:113], v[122:123], v[114:115], -v[112:113]
	buffer_load_dword v122, off, s[36:39], 0 offset:604 ; 4-byte Folded Reload
	buffer_load_dword v123, off, s[36:39], 0 offset:608 ; 4-byte Folded Reload
	buffer_load_dword v124, off, s[36:39], 0 offset:612 ; 4-byte Folded Reload
	buffer_load_dword v125, off, s[36:39], 0 offset:616 ; 4-byte Folded Reload
	s_waitcnt vmcnt(0)
	;; [unrolled: 9-line block ×7, first 2 shown]
	v_mul_f64 v[94:95], v[124:125], v[90:91]
	v_fmac_f64_e32 v[94:95], v[122:123], v[88:89]
	v_mul_f64 v[88:89], v[124:125], v[88:89]
	buffer_load_dword v124, off, s[36:39], 0 offset:700 ; 4-byte Folded Reload
	buffer_load_dword v125, off, s[36:39], 0 offset:704 ; 4-byte Folded Reload
	;; [unrolled: 1-line block ×4, first 2 shown]
	v_fma_f64 v[90:91], v[122:123], v[90:91], -v[88:89]
	s_waitcnt vmcnt(0)
	v_mul_f64 v[122:123], v[126:127], v[86:87]
	v_fmac_f64_e32 v[122:123], v[124:125], v[84:85]
	v_mul_f64 v[84:85], v[126:127], v[84:85]
	v_fma_f64 v[124:125], v[124:125], v[86:87], -v[84:85]
	buffer_load_dword v84, off, s[36:39], 0 offset:684 ; 4-byte Folded Reload
	buffer_load_dword v85, off, s[36:39], 0 offset:688 ; 4-byte Folded Reload
	;; [unrolled: 1-line block ×4, first 2 shown]
	s_waitcnt vmcnt(0)
	v_mul_f64 v[126:127], v[86:87], v[82:83]
	v_fmac_f64_e32 v[126:127], v[84:85], v[80:81]
	v_mul_f64 v[80:81], v[86:87], v[80:81]
	v_fma_f64 v[80:81], v[84:85], v[82:83], -v[80:81]
	buffer_load_dword v84, off, s[36:39], 0 offset:716 ; 4-byte Folded Reload
	buffer_load_dword v85, off, s[36:39], 0 offset:720 ; 4-byte Folded Reload
	buffer_load_dword v86, off, s[36:39], 0 offset:724 ; 4-byte Folded Reload
	buffer_load_dword v87, off, s[36:39], 0 offset:728 ; 4-byte Folded Reload
	s_waitcnt vmcnt(0) lgkmcnt(13)
	v_mul_f64 v[82:83], v[86:87], v[78:79]
	v_fmac_f64_e32 v[82:83], v[84:85], v[76:77]
	v_mul_f64 v[76:77], v[86:87], v[76:77]
	v_fma_f64 v[78:79], v[84:85], v[78:79], -v[76:77]
	buffer_load_dword v84, off, s[36:39], 0 offset:732 ; 4-byte Folded Reload
	buffer_load_dword v85, off, s[36:39], 0 offset:736 ; 4-byte Folded Reload
	;; [unrolled: 1-line block ×4, first 2 shown]
	s_waitcnt vmcnt(0) lgkmcnt(12)
	v_mul_f64 v[128:129], v[86:87], v[74:75]
	v_fmac_f64_e32 v[128:129], v[84:85], v[72:73]
	v_mul_f64 v[72:73], v[86:87], v[72:73]
	v_fma_f64 v[130:131], v[84:85], v[74:75], -v[72:73]
	buffer_load_dword v72, off, s[36:39], 0 offset:748 ; 4-byte Folded Reload
	buffer_load_dword v73, off, s[36:39], 0 offset:752 ; 4-byte Folded Reload
	;; [unrolled: 1-line block ×4, first 2 shown]
	s_waitcnt lgkmcnt(0)
	s_barrier
	s_waitcnt vmcnt(0)
	v_mul_f64 v[132:133], v[74:75], v[70:71]
	v_fmac_f64_e32 v[132:133], v[72:73], v[68:69]
	v_mul_f64 v[68:69], v[74:75], v[68:69]
	v_fma_f64 v[134:135], v[72:73], v[70:71], -v[68:69]
	v_accvgpr_read_b32 v68, a218
	v_accvgpr_read_b32 v70, a220
	v_accvgpr_read_b32 v71, a221
	v_accvgpr_read_b32 v69, a219
	v_mul_f64 v[136:137], v[70:71], v[66:67]
	v_fmac_f64_e32 v[136:137], v[68:69], v[64:65]
	v_mul_f64 v[64:65], v[70:71], v[64:65]
	v_fma_f64 v[138:139], v[68:69], v[66:67], -v[64:65]
	v_accvgpr_read_b32 v64, a214
	v_accvgpr_read_b32 v66, a216
	v_accvgpr_read_b32 v67, a217
	v_accvgpr_read_b32 v65, a215
	;; [unrolled: 8-line block ×7, first 2 shown]
	v_mul_f64 v[72:73], v[46:47], v[42:43]
	v_fmac_f64_e32 v[72:73], v[44:45], v[40:41]
	v_mul_f64 v[40:41], v[46:47], v[40:41]
	v_fma_f64 v[74:75], v[44:45], v[42:43], -v[40:41]
	v_add_f64 v[42:43], v[120:121], v[118:119]
	v_add_f64 v[40:41], v[0:1], v[120:121]
	v_fmac_f64_e32 v[0:1], -0.5, v[42:43]
	v_add_f64 v[42:43], v[116:117], -v[112:113]
	v_add_f64 v[44:45], v[116:117], v[112:113]
	v_fma_f64 v[48:49], s[4:5], v[42:43], v[0:1]
	v_fmac_f64_e32 v[0:1], s[2:3], v[42:43]
	v_add_f64 v[42:43], v[2:3], v[116:117]
	v_fmac_f64_e32 v[2:3], -0.5, v[44:45]
	v_add_f64 v[44:45], v[120:121], -v[118:119]
	v_add_f64 v[46:47], v[114:115], v[110:111]
	v_fma_f64 v[50:51], s[2:3], v[44:45], v[2:3]
	v_fmac_f64_e32 v[2:3], s[4:5], v[44:45]
	;; [unrolled: 6-line block ×8, first 2 shown]
	v_add_f64 v[68:69], v[16:17], v[122:123]
	v_add_f64 v[84:85], v[68:69], v[126:127]
	v_add_f64 v[68:69], v[122:123], v[126:127]
	v_fmac_f64_e32 v[16:17], -0.5, v[68:69]
	v_add_f64 v[70:71], v[124:125], -v[80:81]
	v_fma_f64 v[68:69], s[4:5], v[70:71], v[16:17]
	v_fmac_f64_e32 v[16:17], s[2:3], v[70:71]
	v_add_f64 v[70:71], v[18:19], v[124:125]
	v_add_f64 v[86:87], v[70:71], v[80:81]
	v_add_f64 v[70:71], v[124:125], v[80:81]
	v_fmac_f64_e32 v[18:19], -0.5, v[70:71]
	v_add_f64 v[80:81], v[122:123], -v[126:127]
	v_fma_f64 v[70:71], s[2:3], v[80:81], v[18:19]
	v_fmac_f64_e32 v[18:19], s[4:5], v[80:81]
	v_add_f64 v[80:81], v[20:21], v[82:83]
	v_add_f64 v[124:125], v[80:81], v[128:129]
	v_add_f64 v[80:81], v[82:83], v[128:129]
	v_fmac_f64_e32 v[20:21], -0.5, v[80:81]
	v_add_f64 v[80:81], v[78:79], -v[130:131]
	v_fma_f64 v[120:121], s[4:5], v[80:81], v[20:21]
	v_fmac_f64_e32 v[20:21], s[2:3], v[80:81]
	v_add_f64 v[80:81], v[22:23], v[78:79]
	v_add_f64 v[78:79], v[78:79], v[130:131]
	v_fmac_f64_e32 v[22:23], -0.5, v[78:79]
	v_add_f64 v[78:79], v[82:83], -v[128:129]
	v_fma_f64 v[122:123], s[2:3], v[78:79], v[22:23]
	v_fmac_f64_e32 v[22:23], s[4:5], v[78:79]
	v_add_f64 v[78:79], v[24:25], v[132:133]
	v_add_f64 v[126:127], v[80:81], v[130:131]
	v_add_f64 v[80:81], v[78:79], v[136:137]
	v_add_f64 v[78:79], v[132:133], v[136:137]
	v_fmac_f64_e32 v[24:25], -0.5, v[78:79]
	v_add_f64 v[78:79], v[134:135], -v[138:139]
	v_fma_f64 v[92:93], s[4:5], v[78:79], v[24:25]
	v_fmac_f64_e32 v[24:25], s[2:3], v[78:79]
	v_add_f64 v[78:79], v[26:27], v[134:135]
	v_add_f64 v[82:83], v[78:79], v[138:139]
	v_add_f64 v[78:79], v[134:135], v[138:139]
	v_fmac_f64_e32 v[26:27], -0.5, v[78:79]
	v_add_f64 v[78:79], v[132:133], -v[136:137]
	v_add_f64 v[64:65], v[64:65], v[94:95]
	v_fma_f64 v[94:95], s[2:3], v[78:79], v[26:27]
	v_fmac_f64_e32 v[26:27], s[4:5], v[78:79]
	v_add_f64 v[78:79], v[28:29], v[140:141]
	v_add_f64 v[58:59], v[58:59], v[96:97]
	v_add_f64 v[96:97], v[78:79], v[144:145]
	v_add_f64 v[78:79], v[140:141], v[144:145]
	v_fmac_f64_e32 v[28:29], -0.5, v[78:79]
	v_add_f64 v[78:79], v[142:143], -v[146:147]
	v_fma_f64 v[100:101], s[4:5], v[78:79], v[28:29]
	v_fmac_f64_e32 v[28:29], s[2:3], v[78:79]
	v_add_f64 v[78:79], v[30:31], v[142:143]
	v_add_f64 v[98:99], v[78:79], v[146:147]
	v_add_f64 v[78:79], v[142:143], v[146:147]
	v_fmac_f64_e32 v[30:31], -0.5, v[78:79]
	v_add_f64 v[78:79], v[140:141], -v[144:145]
	v_add_f64 v[56:57], v[56:57], v[102:103]
	;; [unrolled: 16-line block ×4, first 2 shown]
	v_fma_f64 v[118:119], s[2:3], v[72:73], v[38:39]
	v_fmac_f64_e32 v[38:39], s[4:5], v[72:73]
	buffer_load_dword v72, off, s[36:39], 0 offset:24 ; 4-byte Folded Reload
	s_waitcnt vmcnt(0)
	ds_write_b128 v72, v[40:43]
	ds_write_b128 v72, v[48:51] offset:48
	ds_write_b128 v72, v[0:3] offset:96
	buffer_load_dword v0, off, s[36:39], 0 offset:60 ; 4-byte Folded Reload
	s_waitcnt vmcnt(0)
	ds_write_b128 v0, v[44:47]
	ds_write_b128 v0, v[52:55] offset:48
	ds_write_b128 v0, v[4:7] offset:96
	;; [unrolled: 5-line block ×5, first 2 shown]
	v_accvgpr_read_b32 v0, a223
	ds_write_b128 v0, v[124:127]
	ds_write_b128 v0, v[120:123] offset:48
	ds_write_b128 v0, v[20:23] offset:96
	buffer_load_dword v0, off, s[36:39], 0 offset:68 ; 4-byte Folded Reload
	s_waitcnt vmcnt(0)
	ds_write_b128 v0, v[80:83]
	ds_write_b128 v0, v[92:95] offset:48
	ds_write_b128 v0, v[24:27] offset:96
	buffer_load_dword v0, off, s[36:39], 0 offset:52 ; 4-byte Folded Reload
	s_waitcnt vmcnt(0)
	ds_write_b128 v0, v[96:99]
	ds_write_b128 v0, v[100:103] offset:48
	ds_write_b128 v0, v[28:31] offset:96
	buffer_load_dword v0, off, s[36:39], 0 offset:72 ; 4-byte Folded Reload
	s_waitcnt vmcnt(0)
	ds_write_b128 v0, v[104:107]
	ds_write_b128 v0, v[108:111] offset:48
	ds_write_b128 v0, v[32:35] offset:96
	buffer_load_dword v0, off, s[36:39], 0 offset:56 ; 4-byte Folded Reload
	v_accvgpr_read_b32 v122, a224
	v_accvgpr_read_b32 v124, a226
	;; [unrolled: 1-line block ×3, first 2 shown]
	s_waitcnt vmcnt(0)
	ds_write_b128 v0, v[112:115]
	ds_write_b128 v0, v[116:119] offset:48
	ds_write_b128 v0, v[36:39] offset:96
	s_waitcnt lgkmcnt(0)
	s_barrier
	ds_read_b128 v[16:19], v197
	ds_read_b128 v[116:119], v197 offset:5184
	ds_read_b128 v[112:115], v197 offset:10368
	ds_read_b128 v[108:111], v197 offset:15552
	ds_read_b128 v[104:107], v197 offset:20736
	ds_read_b128 v[100:103], v197 offset:25920
	ds_read_b128 v[96:99], v197 offset:31104
	ds_read_b128 v[92:95], v197 offset:36288
	ds_read_b128 v[88:91], v197 offset:41472
	ds_read_b128 v[84:87], v197 offset:46656
	ds_read_b128 v[4:7], v197 offset:1728
	ds_read_b128 v[80:83], v197 offset:6912
	ds_read_b128 v[76:79], v197 offset:12096
	ds_read_b128 v[72:75], v197 offset:17280
	ds_read_b128 v[68:71], v197 offset:22464
	ds_read_b128 v[64:67], v197 offset:27648
	ds_read_b128 v[60:63], v197 offset:32832
	ds_read_b128 v[56:59], v197 offset:38016
	ds_read_b128 v[52:55], v197 offset:43200
	ds_read_b128 v[48:51], v197 offset:48384
	ds_read_b128 v[0:3], v197 offset:3456
	ds_read_b128 v[44:47], v197 offset:8640
	ds_read_b128 v[40:43], v197 offset:13824
	ds_read_b128 v[36:39], v197 offset:19008
	ds_read_b128 v[32:35], v197 offset:24192
	ds_read_b128 v[28:31], v197 offset:29376
	ds_read_b128 v[24:27], v197 offset:34560
	ds_read_b128 v[20:23], v197 offset:39744
	ds_read_b128 v[12:15], v197 offset:44928
	ds_read_b128 v[8:11], v197 offset:50112
	v_accvgpr_read_b32 v123, a225
	s_waitcnt lgkmcnt(14)
	v_mul_f64 v[120:121], v[124:125], v[118:119]
	v_fmac_f64_e32 v[120:121], v[122:123], v[116:117]
	v_mul_f64 v[116:117], v[124:125], v[116:117]
	v_fma_f64 v[122:123], v[122:123], v[118:119], -v[116:117]
	v_accvgpr_read_b32 v116, a228
	v_accvgpr_read_b32 v118, a230
	;; [unrolled: 1-line block ×4, first 2 shown]
	v_mul_f64 v[142:143], v[118:119], v[114:115]
	v_fmac_f64_e32 v[142:143], v[116:117], v[112:113]
	v_mul_f64 v[112:113], v[118:119], v[112:113]
	v_fma_f64 v[136:137], v[116:117], v[114:115], -v[112:113]
	v_accvgpr_read_b32 v112, a232
	v_accvgpr_read_b32 v114, a234
	;; [unrolled: 1-line block ×4, first 2 shown]
	v_mul_f64 v[130:131], v[114:115], v[110:111]
	v_fmac_f64_e32 v[130:131], v[112:113], v[108:109]
	v_mul_f64 v[108:109], v[114:115], v[108:109]
	v_fma_f64 v[124:125], v[112:113], v[110:111], -v[108:109]
	v_accvgpr_read_b32 v108, a236
	v_accvgpr_read_b32 v110, a238
	;; [unrolled: 1-line block ×3, first 2 shown]
	v_mul_f64 v[112:113], v[234:235], v[78:79]
	v_accvgpr_read_b32 v109, a237
	v_mul_f64 v[144:145], v[110:111], v[106:107]
	v_fmac_f64_e32 v[112:113], v[232:233], v[76:77]
	v_mul_f64 v[76:77], v[234:235], v[76:77]
	v_fmac_f64_e32 v[144:145], v[108:109], v[104:105]
	v_mul_f64 v[104:105], v[110:111], v[104:105]
	v_fma_f64 v[110:111], v[232:233], v[78:79], -v[76:77]
	v_accvgpr_read_b32 v76, a148
	v_fma_f64 v[138:139], v[108:109], v[106:107], -v[104:105]
	v_accvgpr_read_b32 v104, a240
	v_accvgpr_read_b32 v78, a150
	;; [unrolled: 1-line block ×6, first 2 shown]
	v_mul_f64 v[108:109], v[78:79], v[74:75]
	v_accvgpr_read_b32 v105, a241
	v_mul_f64 v[132:133], v[106:107], v[102:103]
	v_fmac_f64_e32 v[108:109], v[76:77], v[72:73]
	v_mul_f64 v[72:73], v[78:79], v[72:73]
	v_fmac_f64_e32 v[132:133], v[104:105], v[100:101]
	v_mul_f64 v[100:101], v[106:107], v[100:101]
	v_fma_f64 v[106:107], v[76:77], v[74:75], -v[72:73]
	v_accvgpr_read_b32 v72, a156
	v_accvgpr_read_b32 v74, a158
	;; [unrolled: 1-line block ×4, first 2 shown]
	v_mul_f64 v[114:115], v[74:75], v[70:71]
	v_fmac_f64_e32 v[114:115], v[72:73], v[68:69]
	v_mul_f64 v[68:69], v[74:75], v[68:69]
	v_fma_f64 v[70:71], v[72:73], v[70:71], -v[68:69]
	v_accvgpr_read_b32 v72, a164
	v_accvgpr_read_b32 v74, a166
	;; [unrolled: 1-line block ×3, first 2 shown]
	v_mul_f64 v[68:69], v[218:219], v[66:67]
	v_accvgpr_read_b32 v73, a165
	s_waitcnt lgkmcnt(13)
	v_mul_f64 v[116:117], v[74:75], v[62:63]
	v_fmac_f64_e32 v[68:69], v[216:217], v[64:65]
	v_mul_f64 v[64:65], v[218:219], v[64:65]
	v_fmac_f64_e32 v[116:117], v[72:73], v[60:61]
	v_mul_f64 v[60:61], v[74:75], v[60:61]
	v_fma_f64 v[64:65], v[216:217], v[66:67], -v[64:65]
	v_fma_f64 v[66:67], v[72:73], v[62:63], -v[60:61]
	v_accvgpr_read_b32 v72, a176
	v_accvgpr_read_b32 v74, a178
	;; [unrolled: 1-line block ×4, first 2 shown]
	s_waitcnt lgkmcnt(12)
	v_mul_f64 v[62:63], v[74:75], v[58:59]
	v_fmac_f64_e32 v[62:63], v[72:73], v[56:57]
	v_mul_f64 v[56:57], v[74:75], v[56:57]
	v_fma_f64 v[126:127], v[104:105], v[102:103], -v[100:101]
	v_accvgpr_read_b32 v100, a160
	v_fma_f64 v[60:61], v[72:73], v[58:59], -v[56:57]
	v_accvgpr_read_b32 v56, a252
	v_accvgpr_read_b32 v102, a162
	v_accvgpr_read_b32 v103, a163
	v_accvgpr_read_b32 v58, a254
	v_accvgpr_read_b32 v59, a255
	v_accvgpr_read_b32 v101, a161
	v_mul_f64 v[146:147], v[102:103], v[98:99]
	v_accvgpr_read_b32 v57, a253
	s_waitcnt lgkmcnt(11)
	v_mul_f64 v[118:119], v[58:59], v[54:55]
	v_fmac_f64_e32 v[146:147], v[100:101], v[96:97]
	v_mul_f64 v[96:97], v[102:103], v[96:97]
	v_mul_f64 v[102:103], v[214:215], v[82:83]
	v_fmac_f64_e32 v[118:119], v[56:57], v[52:53]
	v_mul_f64 v[52:53], v[58:59], v[52:53]
	v_fmac_f64_e32 v[102:103], v[212:213], v[80:81]
	v_mul_f64 v[80:81], v[214:215], v[80:81]
	v_fma_f64 v[54:55], v[56:57], v[54:55], -v[52:53]
	v_accvgpr_read_b32 v56, a248
	v_fma_f64 v[104:105], v[212:213], v[82:83], -v[80:81]
	v_accvgpr_read_b32 v58, a250
	v_accvgpr_read_b32 v59, a251
	s_waitcnt lgkmcnt(4)
	v_mul_f64 v[82:83], v[238:239], v[30:31]
	v_accvgpr_read_b32 v57, a249
	v_mul_f64 v[52:53], v[58:59], v[50:51]
	v_fmac_f64_e32 v[82:83], v[236:237], v[28:29]
	v_mul_f64 v[28:29], v[238:239], v[28:29]
	v_fmac_f64_e32 v[52:53], v[56:57], v[48:49]
	v_mul_f64 v[48:49], v[58:59], v[48:49]
	v_fma_f64 v[58:59], v[236:237], v[30:31], -v[28:29]
	v_accvgpr_read_b32 v28, a180
	v_accvgpr_read_b32 v30, a182
	;; [unrolled: 1-line block ×3, first 2 shown]
	v_fma_f64 v[140:141], v[100:101], v[98:99], -v[96:97]
	v_accvgpr_read_b32 v29, a181
	s_waitcnt lgkmcnt(3)
	v_mul_f64 v[100:101], v[30:31], v[26:27]
	v_fmac_f64_e32 v[100:101], v[28:29], v[24:25]
	v_mul_f64 v[24:25], v[30:31], v[24:25]
	v_accvgpr_read_b32 v96, a152
	v_fma_f64 v[26:27], v[28:29], v[26:27], -v[24:25]
	v_accvgpr_read_b32 v28, a184
	v_accvgpr_read_b32 v98, a154
	;; [unrolled: 1-line block ×6, first 2 shown]
	v_mul_f64 v[134:135], v[98:99], v[94:95]
	v_accvgpr_read_b32 v29, a185
	s_waitcnt lgkmcnt(2)
	v_mul_f64 v[24:25], v[30:31], v[22:23]
	v_fmac_f64_e32 v[134:135], v[96:97], v[92:93]
	v_mul_f64 v[92:93], v[98:99], v[92:93]
	v_fmac_f64_e32 v[24:25], v[28:29], v[20:21]
	v_mul_f64 v[20:21], v[30:31], v[20:21]
	v_fma_f64 v[128:129], v[96:97], v[94:95], -v[92:93]
	v_accvgpr_read_b32 v92, a144
	v_fma_f64 v[20:21], v[28:29], v[22:23], -v[20:21]
	v_accvgpr_read_b32 v28, a190
	v_accvgpr_read_b32 v94, a146
	v_accvgpr_read_b32 v95, a147
	v_accvgpr_read_b32 v30, a192
	v_accvgpr_read_b32 v31, a193
	v_accvgpr_read_b32 v93, a145
	v_mul_f64 v[148:149], v[94:95], v[90:91]
	v_mul_f64 v[96:97], v[246:247], v[42:43]
	v_accvgpr_read_b32 v29, a191
	s_waitcnt lgkmcnt(1)
	v_mul_f64 v[22:23], v[30:31], v[14:15]
	v_fmac_f64_e32 v[148:149], v[92:93], v[88:89]
	v_mul_f64 v[88:89], v[94:95], v[88:89]
	v_fmac_f64_e32 v[96:97], v[244:245], v[40:41]
	;; [unrolled: 2-line block ×3, first 2 shown]
	v_mul_f64 v[12:13], v[30:31], v[12:13]
	v_fma_f64 v[90:91], v[92:93], v[90:91], -v[88:89]
	v_fma_f64 v[92:93], v[244:245], v[42:43], -v[40:41]
	v_accvgpr_read_b32 v40, a168
	v_fma_f64 v[14:15], v[28:29], v[14:15], -v[12:13]
	v_accvgpr_read_b32 v28, a244
	v_accvgpr_read_b32 v42, a170
	;; [unrolled: 1-line block ×6, first 2 shown]
	v_mul_f64 v[80:81], v[42:43], v[38:39]
	v_accvgpr_read_b32 v29, a245
	s_waitcnt lgkmcnt(0)
	v_mul_f64 v[12:13], v[30:31], v[10:11]
	v_fmac_f64_e32 v[80:81], v[40:41], v[36:37]
	v_mul_f64 v[36:37], v[42:43], v[36:37]
	v_fmac_f64_e32 v[12:13], v[28:29], v[8:9]
	v_mul_f64 v[8:9], v[30:31], v[8:9]
	v_fma_f64 v[48:49], v[56:57], v[50:51], -v[48:49]
	v_fma_f64 v[56:57], v[40:41], v[38:39], -v[36:37]
	v_accvgpr_read_b32 v36, a172
	v_fma_f64 v[8:9], v[28:29], v[10:11], -v[8:9]
	v_add_f64 v[10:11], v[16:17], v[142:143]
	v_accvgpr_read_b32 v38, a174
	v_accvgpr_read_b32 v39, a175
	v_add_f64 v[10:11], v[10:11], v[144:145]
	v_accvgpr_read_b32 v37, a173
	v_mul_f64 v[98:99], v[38:39], v[34:35]
	v_add_f64 v[10:11], v[10:11], v[146:147]
	v_fmac_f64_e32 v[98:99], v[36:37], v[32:33]
	v_mul_f64 v[32:33], v[38:39], v[32:33]
	v_add_f64 v[28:29], v[10:11], v[148:149]
	v_add_f64 v[10:11], v[144:145], v[146:147]
	v_fma_f64 v[94:95], v[36:37], v[34:35], -v[32:33]
	v_fma_f64 v[10:11], -0.5, v[10:11], v[16:17]
	v_add_f64 v[32:33], v[136:137], -v[90:91]
	v_fma_f64 v[30:31], s[18:19], v[32:33], v[10:11]
	v_add_f64 v[34:35], v[138:139], -v[140:141]
	v_add_f64 v[36:37], v[142:143], -v[144:145]
	;; [unrolled: 1-line block ×3, first 2 shown]
	v_fmac_f64_e32 v[10:11], s[8:9], v[32:33]
	v_fmac_f64_e32 v[30:31], s[16:17], v[34:35]
	v_add_f64 v[36:37], v[36:37], v[38:39]
	v_fmac_f64_e32 v[10:11], s[6:7], v[34:35]
	v_fmac_f64_e32 v[30:31], s[14:15], v[36:37]
	;; [unrolled: 1-line block ×3, first 2 shown]
	v_add_f64 v[36:37], v[142:143], v[148:149]
	v_fmac_f64_e32 v[16:17], -0.5, v[36:37]
	v_mul_f64 v[76:77], v[222:223], v[46:47]
	v_fma_f64 v[36:37], s[8:9], v[34:35], v[16:17]
	v_add_f64 v[38:39], v[144:145], -v[142:143]
	v_add_f64 v[40:41], v[146:147], -v[148:149]
	v_fmac_f64_e32 v[16:17], s[18:19], v[34:35]
	v_add_f64 v[34:35], v[138:139], v[140:141]
	v_fmac_f64_e32 v[76:77], v[220:221], v[44:45]
	v_mul_f64 v[44:45], v[222:223], v[44:45]
	v_fmac_f64_e32 v[36:37], s[16:17], v[32:33]
	v_add_f64 v[38:39], v[38:39], v[40:41]
	v_fmac_f64_e32 v[16:17], s[6:7], v[32:33]
	v_fma_f64 v[34:35], -0.5, v[34:35], v[18:19]
	v_add_f64 v[42:43], v[142:143], -v[148:149]
	v_fma_f64 v[78:79], v[220:221], v[46:47], -v[44:45]
	v_fmac_f64_e32 v[36:37], s[14:15], v[38:39]
	v_fmac_f64_e32 v[16:17], s[14:15], v[38:39]
	v_fma_f64 v[38:39], s[8:9], v[42:43], v[34:35]
	v_add_f64 v[44:45], v[144:145], -v[146:147]
	v_add_f64 v[40:41], v[136:137], -v[138:139]
	;; [unrolled: 1-line block ×3, first 2 shown]
	v_fmac_f64_e32 v[34:35], s[18:19], v[42:43]
	v_fmac_f64_e32 v[38:39], s[6:7], v[44:45]
	v_add_f64 v[40:41], v[40:41], v[46:47]
	v_fmac_f64_e32 v[34:35], s[16:17], v[44:45]
	v_fmac_f64_e32 v[38:39], s[14:15], v[40:41]
	;; [unrolled: 1-line block ×3, first 2 shown]
	v_add_f64 v[40:41], v[136:137], v[90:91]
	v_mul_f64 v[88:89], v[226:227], v[86:87]
	v_add_f64 v[32:33], v[18:19], v[136:137]
	v_fmac_f64_e32 v[18:19], -0.5, v[40:41]
	v_fmac_f64_e32 v[88:89], v[224:225], v[84:85]
	v_mul_f64 v[84:85], v[226:227], v[84:85]
	v_fma_f64 v[40:41], s[18:19], v[44:45], v[18:19]
	v_add_f64 v[46:47], v[138:139], -v[136:137]
	v_add_f64 v[50:51], v[140:141], -v[90:91]
	v_fmac_f64_e32 v[18:19], s[8:9], v[44:45]
	v_fma_f64 v[84:85], v[224:225], v[86:87], -v[84:85]
	v_fmac_f64_e32 v[40:41], s[6:7], v[42:43]
	v_add_f64 v[46:47], v[46:47], v[50:51]
	v_fmac_f64_e32 v[18:19], s[16:17], v[42:43]
	v_add_f64 v[44:45], v[132:133], v[134:135]
	v_fmac_f64_e32 v[40:41], s[14:15], v[46:47]
	v_fmac_f64_e32 v[18:19], s[14:15], v[46:47]
	v_fma_f64 v[44:45], -0.5, v[44:45], v[120:121]
	v_add_f64 v[46:47], v[124:125], -v[84:85]
	v_fma_f64 v[50:51], s[18:19], v[46:47], v[44:45]
	v_add_f64 v[72:73], v[126:127], -v[128:129]
	v_add_f64 v[74:75], v[130:131], -v[132:133]
	;; [unrolled: 1-line block ×3, first 2 shown]
	v_fmac_f64_e32 v[44:45], s[8:9], v[46:47]
	v_fmac_f64_e32 v[50:51], s[16:17], v[72:73]
	v_add_f64 v[74:75], v[74:75], v[86:87]
	v_fmac_f64_e32 v[44:45], s[6:7], v[72:73]
	v_add_f64 v[32:33], v[32:33], v[138:139]
	v_fmac_f64_e32 v[50:51], s[14:15], v[74:75]
	v_fmac_f64_e32 v[44:45], s[14:15], v[74:75]
	v_add_f64 v[74:75], v[130:131], v[88:89]
	v_add_f64 v[32:33], v[32:33], v[140:141]
	;; [unrolled: 1-line block ×3, first 2 shown]
	v_fmac_f64_e32 v[120:121], -0.5, v[74:75]
	v_add_f64 v[32:33], v[32:33], v[90:91]
	v_fma_f64 v[74:75], s[8:9], v[72:73], v[120:121]
	v_add_f64 v[86:87], v[132:133], -v[130:131]
	v_add_f64 v[90:91], v[134:135], -v[88:89]
	v_fmac_f64_e32 v[120:121], s[18:19], v[72:73]
	v_add_f64 v[42:43], v[42:43], v[132:133]
	v_fmac_f64_e32 v[74:75], s[16:17], v[46:47]
	v_add_f64 v[86:87], v[86:87], v[90:91]
	;; [unrolled: 2-line block ×3, first 2 shown]
	v_add_f64 v[42:43], v[42:43], v[134:135]
	v_fmac_f64_e32 v[74:75], s[14:15], v[86:87]
	v_fmac_f64_e32 v[120:121], s[14:15], v[86:87]
	v_fma_f64 v[72:73], -0.5, v[72:73], v[122:123]
	v_add_f64 v[86:87], v[130:131], -v[88:89]
	v_add_f64 v[42:43], v[42:43], v[88:89]
	v_fma_f64 v[90:91], s[8:9], v[86:87], v[72:73]
	v_add_f64 v[88:89], v[132:133], -v[134:135]
	v_add_f64 v[130:131], v[124:125], -v[126:127]
	;; [unrolled: 1-line block ×3, first 2 shown]
	v_fmac_f64_e32 v[72:73], s[18:19], v[86:87]
	v_add_f64 v[46:47], v[122:123], v[124:125]
	v_fmac_f64_e32 v[90:91], s[6:7], v[88:89]
	v_add_f64 v[130:131], v[130:131], v[132:133]
	;; [unrolled: 2-line block ×3, first 2 shown]
	v_fmac_f64_e32 v[90:91], s[14:15], v[130:131]
	v_fmac_f64_e32 v[72:73], s[14:15], v[130:131]
	v_add_f64 v[130:131], v[124:125], v[84:85]
	v_add_f64 v[46:47], v[46:47], v[128:129]
	v_fmac_f64_e32 v[122:123], -0.5, v[130:131]
	v_add_f64 v[46:47], v[46:47], v[84:85]
	v_fma_f64 v[130:131], s[18:19], v[88:89], v[122:123]
	v_add_f64 v[124:125], v[126:127], -v[124:125]
	v_add_f64 v[84:85], v[128:129], -v[84:85]
	v_fmac_f64_e32 v[122:123], s[8:9], v[88:89]
	v_fmac_f64_e32 v[130:131], s[6:7], v[86:87]
	v_add_f64 v[84:85], v[124:125], v[84:85]
	v_fmac_f64_e32 v[122:123], s[16:17], v[86:87]
	v_fmac_f64_e32 v[130:131], s[14:15], v[84:85]
	v_fmac_f64_e32 v[122:123], s[14:15], v[84:85]
	v_mul_f64 v[84:85], v[90:91], s[16:17]
	v_mul_f64 v[128:129], v[90:91], s[24:25]
	v_fmac_f64_e32 v[84:85], s[24:25], v[50:51]
	v_mul_f64 v[86:87], v[130:131], s[18:19]
	v_mul_f64 v[126:127], v[72:73], s[16:17]
	v_fmac_f64_e32 v[128:129], s[6:7], v[50:51]
	v_mul_f64 v[50:51], v[130:131], s[14:15]
	v_fmac_f64_e32 v[86:87], s[14:15], v[74:75]
	v_mul_f64 v[124:125], v[122:123], s[18:19]
	v_fmac_f64_e32 v[126:127], s[20:21], v[44:45]
	v_fmac_f64_e32 v[50:51], s[8:9], v[74:75]
	v_mul_f64 v[74:75], v[122:123], s[22:23]
	v_fmac_f64_e32 v[124:125], s[22:23], v[120:121]
	v_add_f64 v[220:221], v[10:11], v[126:127]
	v_fmac_f64_e32 v[74:75], s[8:9], v[120:121]
	v_mul_f64 v[120:121], v[72:73], s[20:21]
	v_add_f64 v[72:73], v[10:11], -v[126:127]
	v_add_f64 v[10:11], v[4:5], v[112:113]
	v_add_f64 v[10:11], v[10:11], v[114:115]
	;; [unrolled: 1-line block ×4, first 2 shown]
	v_add_f64 v[244:245], v[16:17], -v[124:125]
	v_add_f64 v[16:17], v[10:11], v[118:119]
	v_add_f64 v[10:11], v[114:115], v[116:117]
	v_add_f64 v[212:213], v[30:31], v[84:85]
	v_fmac_f64_e32 v[120:121], s[6:7], v[44:45]
	v_add_f64 v[232:233], v[30:31], -v[84:85]
	v_fma_f64 v[10:11], -0.5, v[10:11], v[4:5]
	v_add_f64 v[30:31], v[110:111], -v[54:55]
	v_add_f64 v[216:217], v[28:29], v[42:43]
	v_add_f64 v[218:219], v[32:33], v[46:47]
	;; [unrolled: 1-line block ×4, first 2 shown]
	v_add_f64 v[236:237], v[28:29], -v[42:43]
	v_add_f64 v[238:239], v[32:33], -v[46:47]
	;; [unrolled: 1-line block ×4, first 2 shown]
	v_fma_f64 v[18:19], s[18:19], v[30:31], v[10:11]
	v_add_f64 v[32:33], v[70:71], -v[66:67]
	v_add_f64 v[28:29], v[112:113], -v[114:115]
	;; [unrolled: 1-line block ×3, first 2 shown]
	v_fmac_f64_e32 v[10:11], s[8:9], v[30:31]
	v_fmac_f64_e32 v[18:19], s[16:17], v[32:33]
	v_add_f64 v[28:29], v[28:29], v[34:35]
	v_fmac_f64_e32 v[10:11], s[6:7], v[32:33]
	v_fmac_f64_e32 v[18:19], s[14:15], v[28:29]
	v_fmac_f64_e32 v[10:11], s[14:15], v[28:29]
	v_add_f64 v[28:29], v[112:113], v[118:119]
	v_fmac_f64_e32 v[4:5], -0.5, v[28:29]
	v_add_f64 v[88:89], v[36:37], v[86:87]
	v_add_f64 v[84:85], v[36:37], -v[86:87]
	v_fma_f64 v[28:29], s[8:9], v[32:33], v[4:5]
	v_add_f64 v[34:35], v[114:115], -v[112:113]
	v_add_f64 v[36:37], v[116:117], -v[118:119]
	v_fmac_f64_e32 v[4:5], s[18:19], v[32:33]
	v_fmac_f64_e32 v[28:29], s[16:17], v[30:31]
	v_add_f64 v[34:35], v[34:35], v[36:37]
	v_fmac_f64_e32 v[4:5], s[6:7], v[30:31]
	v_add_f64 v[32:33], v[70:71], v[66:67]
	v_fmac_f64_e32 v[28:29], s[14:15], v[34:35]
	v_fmac_f64_e32 v[4:5], s[14:15], v[34:35]
	v_fma_f64 v[34:35], -0.5, v[32:33], v[6:7]
	v_add_f64 v[32:33], v[112:113], -v[118:119]
	v_add_f64 v[214:215], v[38:39], v[128:129]
	v_add_f64 v[90:91], v[40:41], v[50:51]
	v_add_f64 v[234:235], v[38:39], -v[128:129]
	v_add_f64 v[86:87], v[40:41], -v[50:51]
	v_fma_f64 v[42:43], s[8:9], v[32:33], v[34:35]
	v_add_f64 v[36:37], v[114:115], -v[116:117]
	v_add_f64 v[38:39], v[110:111], -v[70:71]
	v_add_f64 v[40:41], v[54:55], -v[66:67]
	v_fmac_f64_e32 v[34:35], s[18:19], v[32:33]
	v_fmac_f64_e32 v[42:43], s[6:7], v[36:37]
	v_add_f64 v[38:39], v[38:39], v[40:41]
	v_fmac_f64_e32 v[34:35], s[16:17], v[36:37]
	v_fmac_f64_e32 v[42:43], s[14:15], v[38:39]
	;; [unrolled: 1-line block ×3, first 2 shown]
	v_add_f64 v[38:39], v[110:111], v[54:55]
	v_add_f64 v[30:31], v[6:7], v[110:111]
	v_fmac_f64_e32 v[6:7], -0.5, v[38:39]
	v_fma_f64 v[46:47], s[18:19], v[36:37], v[6:7]
	v_add_f64 v[38:39], v[70:71], -v[110:111]
	v_add_f64 v[40:41], v[66:67], -v[54:55]
	v_fmac_f64_e32 v[6:7], s[8:9], v[36:37]
	v_add_f64 v[30:31], v[30:31], v[70:71]
	v_fmac_f64_e32 v[46:47], s[6:7], v[32:33]
	v_add_f64 v[38:39], v[38:39], v[40:41]
	v_fmac_f64_e32 v[6:7], s[16:17], v[32:33]
	v_add_f64 v[36:37], v[68:69], v[62:63]
	v_add_f64 v[30:31], v[30:31], v[66:67]
	v_fmac_f64_e32 v[46:47], s[14:15], v[38:39]
	v_fmac_f64_e32 v[6:7], s[14:15], v[38:39]
	v_fma_f64 v[36:37], -0.5, v[36:37], v[102:103]
	v_add_f64 v[38:39], v[106:107], -v[48:49]
	v_add_f64 v[30:31], v[30:31], v[54:55]
	v_fma_f64 v[40:41], s[18:19], v[38:39], v[36:37]
	v_add_f64 v[44:45], v[64:65], -v[60:61]
	v_add_f64 v[50:51], v[108:109], -v[68:69]
	;; [unrolled: 1-line block ×3, first 2 shown]
	v_fmac_f64_e32 v[36:37], s[8:9], v[38:39]
	v_fmac_f64_e32 v[40:41], s[16:17], v[44:45]
	v_add_f64 v[50:51], v[50:51], v[54:55]
	v_fmac_f64_e32 v[36:37], s[6:7], v[44:45]
	v_add_f64 v[32:33], v[102:103], v[108:109]
	v_fmac_f64_e32 v[40:41], s[14:15], v[50:51]
	v_fmac_f64_e32 v[36:37], s[14:15], v[50:51]
	v_add_f64 v[50:51], v[108:109], v[52:53]
	v_add_f64 v[32:33], v[32:33], v[68:69]
	v_fmac_f64_e32 v[102:103], -0.5, v[50:51]
	v_add_f64 v[32:33], v[32:33], v[62:63]
	v_fma_f64 v[50:51], s[8:9], v[44:45], v[102:103]
	v_add_f64 v[54:55], v[68:69], -v[108:109]
	v_add_f64 v[66:67], v[62:63], -v[52:53]
	v_fmac_f64_e32 v[102:103], s[18:19], v[44:45]
	v_add_f64 v[44:45], v[64:65], v[60:61]
	v_add_f64 v[32:33], v[32:33], v[52:53]
	v_fmac_f64_e32 v[50:51], s[16:17], v[38:39]
	v_add_f64 v[54:55], v[54:55], v[66:67]
	v_fmac_f64_e32 v[102:103], s[6:7], v[38:39]
	v_fma_f64 v[44:45], -0.5, v[44:45], v[104:105]
	v_add_f64 v[52:53], v[108:109], -v[52:53]
	v_fmac_f64_e32 v[50:51], s[14:15], v[54:55]
	v_fmac_f64_e32 v[102:103], s[14:15], v[54:55]
	v_fma_f64 v[54:55], s[8:9], v[52:53], v[44:45]
	v_add_f64 v[62:63], v[68:69], -v[62:63]
	v_add_f64 v[66:67], v[106:107], -v[64:65]
	;; [unrolled: 1-line block ×3, first 2 shown]
	v_fmac_f64_e32 v[44:45], s[18:19], v[52:53]
	v_add_f64 v[38:39], v[104:105], v[106:107]
	v_fmac_f64_e32 v[54:55], s[6:7], v[62:63]
	v_add_f64 v[66:67], v[66:67], v[68:69]
	;; [unrolled: 2-line block ×3, first 2 shown]
	v_fmac_f64_e32 v[54:55], s[14:15], v[66:67]
	v_fmac_f64_e32 v[44:45], s[14:15], v[66:67]
	v_add_f64 v[66:67], v[106:107], v[48:49]
	v_add_f64 v[38:39], v[38:39], v[60:61]
	v_fmac_f64_e32 v[104:105], -0.5, v[66:67]
	v_add_f64 v[38:39], v[38:39], v[48:49]
	v_fma_f64 v[70:71], s[18:19], v[62:63], v[104:105]
	v_add_f64 v[64:65], v[64:65], -v[106:107]
	v_add_f64 v[48:49], v[60:61], -v[48:49]
	v_fmac_f64_e32 v[104:105], s[8:9], v[62:63]
	v_add_f64 v[48:49], v[64:65], v[48:49]
	v_fmac_f64_e32 v[104:105], s[16:17], v[52:53]
	v_fmac_f64_e32 v[70:71], s[6:7], v[52:53]
	;; [unrolled: 1-line block ×4, first 2 shown]
	v_mul_f64 v[110:111], v[104:105], s[18:19]
	v_mul_f64 v[104:105], v[104:105], s[22:23]
	;; [unrolled: 1-line block ×4, first 2 shown]
	v_fmac_f64_e32 v[104:105], s[8:9], v[102:103]
	v_mul_f64 v[106:107], v[54:55], s[16:17]
	v_fmac_f64_e32 v[108:109], s[14:15], v[50:51]
	v_fmac_f64_e32 v[110:111], s[22:23], v[102:103]
	v_mul_f64 v[112:113], v[44:45], s[16:17]
	v_add_f64 v[62:63], v[30:31], v[38:39]
	v_fmac_f64_e32 v[116:117], s[8:9], v[50:51]
	v_add_f64 v[50:51], v[6:7], v[104:105]
	v_mul_f64 v[102:103], v[44:45], s[20:21]
	v_add_f64 v[38:39], v[30:31], -v[38:39]
	v_add_f64 v[30:31], v[6:7], -v[104:105]
	v_add_f64 v[6:7], v[98:99], v[100:101]
	v_add_f64 v[60:61], v[16:17], v[32:33]
	v_fmac_f64_e32 v[106:107], s[24:25], v[40:41]
	v_fmac_f64_e32 v[112:113], s[20:21], v[36:37]
	v_mul_f64 v[114:115], v[54:55], s[24:25]
	v_fmac_f64_e32 v[102:103], s[6:7], v[36:37]
	v_add_f64 v[36:37], v[16:17], -v[32:33]
	v_fma_f64 v[6:7], -0.5, v[6:7], v[0:1]
	v_add_f64 v[16:17], v[92:93], -v[14:15]
	v_add_f64 v[64:65], v[18:19], v[106:107]
	v_add_f64 v[52:53], v[10:11], v[112:113]
	v_fmac_f64_e32 v[114:115], s[6:7], v[40:41]
	v_add_f64 v[54:55], v[34:35], v[102:103]
	v_add_f64 v[40:41], v[18:19], -v[106:107]
	v_add_f64 v[32:33], v[10:11], -v[112:113]
	v_add_f64 v[34:35], v[34:35], -v[102:103]
	v_fma_f64 v[10:11], s[18:19], v[16:17], v[6:7]
	v_add_f64 v[18:19], v[94:95], -v[26:27]
	v_add_f64 v[102:103], v[96:97], -v[98:99]
	;; [unrolled: 1-line block ×3, first 2 shown]
	v_fmac_f64_e32 v[6:7], s[8:9], v[16:17]
	v_fmac_f64_e32 v[10:11], s[16:17], v[18:19]
	v_add_f64 v[102:103], v[102:103], v[104:105]
	v_fmac_f64_e32 v[6:7], s[6:7], v[18:19]
	v_fmac_f64_e32 v[10:11], s[14:15], v[102:103]
	;; [unrolled: 1-line block ×3, first 2 shown]
	v_add_f64 v[102:103], v[96:97], v[22:23]
	v_add_f64 v[68:69], v[28:29], v[108:109]
	;; [unrolled: 1-line block ×3, first 2 shown]
	v_add_f64 v[44:45], v[28:29], -v[108:109]
	v_add_f64 v[28:29], v[4:5], -v[110:111]
	v_add_f64 v[4:5], v[0:1], v[96:97]
	v_fmac_f64_e32 v[0:1], -0.5, v[102:103]
	v_fma_f64 v[106:107], s[8:9], v[18:19], v[0:1]
	v_fmac_f64_e32 v[0:1], s[18:19], v[18:19]
	v_fmac_f64_e32 v[106:107], s[16:17], v[16:17]
	;; [unrolled: 1-line block ×3, first 2 shown]
	v_add_f64 v[16:17], v[2:3], v[92:93]
	v_add_f64 v[102:103], v[98:99], -v[96:97]
	v_add_f64 v[104:105], v[100:101], -v[22:23]
	v_add_f64 v[16:17], v[16:17], v[94:95]
	v_add_f64 v[102:103], v[102:103], v[104:105]
	;; [unrolled: 1-line block ×4, first 2 shown]
	v_fmac_f64_e32 v[106:107], s[14:15], v[102:103]
	v_fmac_f64_e32 v[0:1], s[14:15], v[102:103]
	v_add_f64 v[102:103], v[16:17], v[14:15]
	v_add_f64 v[16:17], v[94:95], v[26:27]
	;; [unrolled: 1-line block ×3, first 2 shown]
	v_fma_f64 v[104:105], -0.5, v[16:17], v[2:3]
	v_add_f64 v[16:17], v[96:97], -v[22:23]
	v_add_f64 v[4:5], v[4:5], v[22:23]
	v_fma_f64 v[96:97], s[8:9], v[16:17], v[104:105]
	v_add_f64 v[18:19], v[98:99], -v[100:101]
	v_add_f64 v[22:23], v[92:93], -v[94:95]
	;; [unrolled: 1-line block ×3, first 2 shown]
	v_fmac_f64_e32 v[104:105], s[18:19], v[16:17]
	v_fmac_f64_e32 v[96:97], s[6:7], v[18:19]
	v_add_f64 v[22:23], v[22:23], v[98:99]
	v_fmac_f64_e32 v[104:105], s[16:17], v[18:19]
	v_fmac_f64_e32 v[96:97], s[14:15], v[22:23]
	;; [unrolled: 1-line block ×3, first 2 shown]
	v_add_f64 v[22:23], v[92:93], v[14:15]
	v_fmac_f64_e32 v[2:3], -0.5, v[22:23]
	v_fma_f64 v[98:99], s[18:19], v[18:19], v[2:3]
	v_add_f64 v[22:23], v[94:95], -v[92:93]
	v_add_f64 v[14:15], v[26:27], -v[14:15]
	v_fmac_f64_e32 v[2:3], s[8:9], v[18:19]
	v_fmac_f64_e32 v[98:99], s[6:7], v[16:17]
	v_add_f64 v[14:15], v[22:23], v[14:15]
	v_fmac_f64_e32 v[2:3], s[16:17], v[16:17]
	v_fmac_f64_e32 v[98:99], s[14:15], v[14:15]
	;; [unrolled: 1-line block ×3, first 2 shown]
	v_add_f64 v[14:15], v[76:77], v[80:81]
	v_add_f64 v[14:15], v[14:15], v[82:83]
	;; [unrolled: 1-line block ×5, first 2 shown]
	v_fma_f64 v[18:19], -0.5, v[14:15], v[76:77]
	v_add_f64 v[14:15], v[56:57], -v[8:9]
	v_fma_f64 v[26:27], s[18:19], v[14:15], v[18:19]
	v_add_f64 v[16:17], v[58:59], -v[20:21]
	v_add_f64 v[22:23], v[80:81], -v[82:83]
	;; [unrolled: 1-line block ×3, first 2 shown]
	v_fmac_f64_e32 v[18:19], s[8:9], v[14:15]
	v_fmac_f64_e32 v[26:27], s[16:17], v[16:17]
	v_add_f64 v[22:23], v[22:23], v[94:95]
	v_fmac_f64_e32 v[18:19], s[6:7], v[16:17]
	v_fmac_f64_e32 v[26:27], s[14:15], v[22:23]
	;; [unrolled: 1-line block ×3, first 2 shown]
	v_add_f64 v[22:23], v[80:81], v[12:13]
	v_fmac_f64_e32 v[76:77], -0.5, v[22:23]
	v_fma_f64 v[94:95], s[8:9], v[16:17], v[76:77]
	v_fmac_f64_e32 v[76:77], s[18:19], v[16:17]
	v_fmac_f64_e32 v[94:95], s[16:17], v[14:15]
	;; [unrolled: 1-line block ×3, first 2 shown]
	v_add_f64 v[14:15], v[78:79], v[56:57]
	v_add_f64 v[14:15], v[14:15], v[58:59]
	v_add_f64 v[22:23], v[82:83], -v[80:81]
	v_add_f64 v[100:101], v[24:25], -v[12:13]
	v_add_f64 v[14:15], v[14:15], v[20:21]
	v_add_f64 v[22:23], v[22:23], v[100:101]
	;; [unrolled: 1-line block ×4, first 2 shown]
	v_fma_f64 v[108:109], -0.5, v[14:15], v[78:79]
	v_add_f64 v[12:13], v[80:81], -v[12:13]
	v_fmac_f64_e32 v[94:95], s[14:15], v[22:23]
	v_fmac_f64_e32 v[76:77], s[14:15], v[22:23]
	v_fma_f64 v[14:15], s[8:9], v[12:13], v[108:109]
	v_add_f64 v[16:17], v[82:83], -v[24:25]
	v_add_f64 v[22:23], v[56:57], -v[58:59]
	;; [unrolled: 1-line block ×3, first 2 shown]
	v_fmac_f64_e32 v[108:109], s[18:19], v[12:13]
	v_fmac_f64_e32 v[14:15], s[6:7], v[16:17]
	v_add_f64 v[22:23], v[22:23], v[24:25]
	v_fmac_f64_e32 v[108:109], s[16:17], v[16:17]
	v_fmac_f64_e32 v[14:15], s[14:15], v[22:23]
	;; [unrolled: 1-line block ×3, first 2 shown]
	v_add_f64 v[22:23], v[56:57], v[8:9]
	v_fmac_f64_e32 v[78:79], -0.5, v[22:23]
	v_fma_f64 v[80:81], s[18:19], v[16:17], v[78:79]
	v_add_f64 v[22:23], v[58:59], -v[56:57]
	v_add_f64 v[8:9], v[20:21], -v[8:9]
	v_fmac_f64_e32 v[80:81], s[6:7], v[12:13]
	v_add_f64 v[8:9], v[22:23], v[8:9]
	v_fmac_f64_e32 v[78:79], s[8:9], v[16:17]
	v_fmac_f64_e32 v[80:81], s[14:15], v[8:9]
	;; [unrolled: 1-line block ×4, first 2 shown]
	v_mul_f64 v[110:111], v[80:81], s[18:19]
	v_mul_f64 v[118:119], v[80:81], s[14:15]
	v_add_f64 v[66:67], v[42:43], v[114:115]
	v_add_f64 v[70:71], v[46:47], v[116:117]
	v_add_f64 v[42:43], v[42:43], -v[114:115]
	v_add_f64 v[46:47], v[46:47], -v[116:117]
	v_mul_f64 v[82:83], v[14:15], s[16:17]
	v_fmac_f64_e32 v[110:111], s[14:15], v[94:95]
	v_mul_f64 v[112:113], v[78:79], s[18:19]
	v_mul_f64 v[114:115], v[108:109], s[16:17]
	;; [unrolled: 1-line block ×3, first 2 shown]
	v_fmac_f64_e32 v[118:119], s[8:9], v[94:95]
	v_mul_f64 v[94:95], v[78:79], s[22:23]
	v_mul_f64 v[108:109], v[108:109], s[20:21]
	v_fmac_f64_e32 v[82:83], s[24:25], v[26:27]
	v_fmac_f64_e32 v[112:113], s[22:23], v[76:77]
	;; [unrolled: 1-line block ×6, first 2 shown]
	v_accvgpr_read_b32 v120, a120
	v_add_f64 v[20:21], v[4:5], v[92:93]
	v_add_f64 v[24:25], v[10:11], v[82:83]
	;; [unrolled: 1-line block ×10, first 2 shown]
	v_add_f64 v[8:9], v[4:5], -v[92:93]
	v_add_f64 v[80:81], v[10:11], -v[82:83]
	;; [unrolled: 1-line block ×10, first 2 shown]
	v_accvgpr_read_b32 v122, a122
	v_accvgpr_read_b32 v123, a123
	s_barrier
	ds_write_b128 v194, v[216:219]
	ds_write_b128 v194, v[212:215] offset:144
	ds_write_b128 v194, v[88:91] offset:288
	ds_write_b128 v194, v[224:227] offset:432
	ds_write_b128 v194, v[220:223] offset:576
	ds_write_b128 v194, v[236:239] offset:720
	ds_write_b128 v194, v[232:235] offset:864
	ds_write_b128 v194, v[84:87] offset:1008
	ds_write_b128 v194, v[244:247] offset:1152
	ds_write_b128 v194, v[72:75] offset:1296
	ds_write_b128 v169, v[60:63]
	ds_write_b128 v169, v[64:67] offset:144
	ds_write_b128 v169, v[68:71] offset:288
	ds_write_b128 v169, v[48:51] offset:432
	ds_write_b128 v169, v[52:55] offset:576
	ds_write_b128 v169, v[36:39] offset:720
	ds_write_b128 v169, v[40:43] offset:864
	ds_write_b128 v169, v[44:47] offset:1008
	ds_write_b128 v169, v[28:31] offset:1152
	ds_write_b128 v169, v[32:35] offset:1296
	;; [unrolled: 10-line block ×3, first 2 shown]
	s_waitcnt lgkmcnt(0)
	s_barrier
	ds_read_b128 v[16:19], v197
	ds_read_b128 v[116:119], v197 offset:8640
	ds_read_b128 v[112:115], v197 offset:17280
	;; [unrolled: 1-line block ×29, first 2 shown]
	v_accvgpr_read_b32 v121, a121
	s_waitcnt lgkmcnt(14)
	v_mul_f64 v[138:139], v[122:123], v[118:119]
	v_fmac_f64_e32 v[138:139], v[120:121], v[116:117]
	v_mul_f64 v[116:117], v[122:123], v[116:117]
	v_fma_f64 v[140:141], v[120:121], v[118:119], -v[116:117]
	v_accvgpr_read_b32 v119, a111
	v_accvgpr_read_b32 v118, a110
	v_accvgpr_read_b32 v117, a109
	v_accvgpr_read_b32 v116, a108
	v_mul_f64 v[142:143], v[118:119], v[114:115]
	v_fmac_f64_e32 v[142:143], v[116:117], v[112:113]
	v_mul_f64 v[112:113], v[118:119], v[112:113]
	v_fma_f64 v[144:145], v[116:117], v[114:115], -v[112:113]
	v_accvgpr_read_b32 v115, a83
	v_accvgpr_read_b32 v114, a82
	v_accvgpr_read_b32 v113, a81
	v_accvgpr_read_b32 v112, a80
	;; [unrolled: 8-line block ×13, first 2 shown]
	s_waitcnt lgkmcnt(13)
	v_mul_f64 v[70:71], v[82:83], v[66:67]
	v_fmac_f64_e32 v[70:71], v[80:81], v[64:65]
	v_mul_f64 v[64:65], v[82:83], v[64:65]
	v_fma_f64 v[66:67], v[80:81], v[66:67], -v[64:65]
	v_accvgpr_read_b32 v80, a128
	v_accvgpr_read_b32 v82, a130
	v_accvgpr_read_b32 v83, a131
	v_accvgpr_read_b32 v81, a129
	s_waitcnt lgkmcnt(12)
	v_mul_f64 v[64:65], v[82:83], v[62:63]
	v_fmac_f64_e32 v[64:65], v[80:81], v[60:61]
	v_mul_f64 v[60:61], v[82:83], v[60:61]
	v_fma_f64 v[60:61], v[80:81], v[62:63], -v[60:61]
	v_accvgpr_read_b32 v83, a63
	v_accvgpr_read_b32 v82, a62
	v_accvgpr_read_b32 v81, a61
	v_accvgpr_read_b32 v80, a60
	;; [unrolled: 9-line block ×11, first 2 shown]
	s_waitcnt lgkmcnt(0)
	v_mul_f64 v[104:105], v[26:27], v[22:23]
	v_fmac_f64_e32 v[104:105], v[24:25], v[20:21]
	v_mul_f64 v[20:21], v[26:27], v[20:21]
	v_fma_f64 v[108:109], v[24:25], v[22:23], -v[20:21]
	v_add_f64 v[20:21], v[16:17], v[142:143]
	v_add_f64 v[32:33], v[20:21], v[150:151]
	v_add_f64 v[20:21], v[142:143], v[150:151]
	v_fmac_f64_e32 v[16:17], -0.5, v[20:21]
	v_add_f64 v[20:21], v[144:145], -v[152:153]
	v_fma_f64 v[34:35], s[4:5], v[20:21], v[16:17]
	v_fmac_f64_e32 v[16:17], s[2:3], v[20:21]
	v_add_f64 v[20:21], v[18:19], v[144:145]
	v_add_f64 v[38:39], v[20:21], v[152:153]
	v_add_f64 v[20:21], v[144:145], v[152:153]
	v_fmac_f64_e32 v[18:19], -0.5, v[20:21]
	v_add_f64 v[20:21], v[142:143], -v[150:151]
	v_fma_f64 v[40:41], s[2:3], v[20:21], v[18:19]
	v_fmac_f64_e32 v[18:19], s[4:5], v[20:21]
	;; [unrolled: 7-line block ×3, first 2 shown]
	v_add_f64 v[20:21], v[140:141], v[148:149]
	v_add_f64 v[42:43], v[20:21], v[166:167]
	;; [unrolled: 1-line block ×3, first 2 shown]
	v_fmac_f64_e32 v[140:141], -0.5, v[20:21]
	v_add_f64 v[20:21], v[146:147], -v[158:159]
	v_fma_f64 v[30:31], s[2:3], v[20:21], v[140:141]
	v_mul_f64 v[44:45], v[30:31], s[4:5]
	v_mul_f64 v[48:49], v[30:31], 0.5
	v_fmac_f64_e32 v[44:45], 0.5, v[22:23]
	v_fmac_f64_e32 v[48:49], s[2:3], v[22:23]
	v_fmac_f64_e32 v[140:141], s[4:5], v[20:21]
	v_add_f64 v[24:25], v[32:33], v[36:37]
	v_add_f64 v[20:21], v[34:35], v[44:45]
	;; [unrolled: 1-line block ×3, first 2 shown]
	v_add_f64 v[36:37], v[32:33], -v[36:37]
	v_add_f64 v[32:33], v[34:35], -v[44:45]
	;; [unrolled: 1-line block ×3, first 2 shown]
	v_add_f64 v[40:41], v[12:13], v[132:133]
	v_add_f64 v[52:53], v[40:41], v[168:169]
	;; [unrolled: 1-line block ×3, first 2 shown]
	v_fmac_f64_e32 v[12:13], -0.5, v[40:41]
	v_add_f64 v[40:41], v[136:137], -v[212:213]
	v_fma_f64 v[54:55], s[4:5], v[40:41], v[12:13]
	v_fmac_f64_e32 v[12:13], s[2:3], v[40:41]
	v_add_f64 v[40:41], v[14:15], v[136:137]
	v_add_f64 v[58:59], v[40:41], v[212:213]
	;; [unrolled: 1-line block ×3, first 2 shown]
	v_fmac_f64_e32 v[14:15], -0.5, v[40:41]
	v_add_f64 v[40:41], v[132:133], -v[168:169]
	v_fma_f64 v[62:63], s[2:3], v[40:41], v[14:15]
	v_fmac_f64_e32 v[14:15], s[4:5], v[40:41]
	v_add_f64 v[40:41], v[122:123], v[126:127]
	v_add_f64 v[56:57], v[40:41], v[130:131]
	v_add_f64 v[40:41], v[126:127], v[130:131]
	v_fmac_f64_e32 v[122:123], -0.5, v[40:41]
	v_add_f64 v[40:41], v[128:129], -v[134:135]
	v_add_f64 v[26:27], v[38:39], v[42:43]
	v_add_f64 v[38:39], v[38:39], -v[42:43]
	v_fma_f64 v[42:43], s[4:5], v[40:41], v[122:123]
	v_fmac_f64_e32 v[122:123], s[2:3], v[40:41]
	v_add_f64 v[40:41], v[124:125], v[128:129]
	v_mul_f64 v[50:51], v[140:141], -0.5
	v_add_f64 v[132:133], v[40:41], v[134:135]
	v_add_f64 v[40:41], v[128:129], v[134:135]
	v_fmac_f64_e32 v[50:51], s[2:3], v[138:139]
	v_fmac_f64_e32 v[124:125], -0.5, v[40:41]
	v_add_f64 v[40:41], v[126:127], -v[130:131]
	v_add_f64 v[30:31], v[18:19], v[50:51]
	v_add_f64 v[18:19], v[18:19], -v[50:51]
	v_fma_f64 v[50:51], s[2:3], v[40:41], v[124:125]
	v_mul_f64 v[126:127], v[50:51], s[4:5]
	v_mul_f64 v[130:131], v[50:51], 0.5
	v_fmac_f64_e32 v[124:125], s[4:5], v[40:41]
	v_fmac_f64_e32 v[126:127], 0.5, v[42:43]
	v_fmac_f64_e32 v[130:131], s[2:3], v[42:43]
	v_add_f64 v[44:45], v[52:53], v[56:57]
	v_add_f64 v[40:41], v[54:55], v[126:127]
	v_mul_f64 v[128:129], v[124:125], s[4:5]
	v_add_f64 v[42:43], v[62:63], v[130:131]
	v_mul_f64 v[124:125], v[124:125], -0.5
	v_add_f64 v[56:57], v[52:53], -v[56:57]
	v_add_f64 v[52:53], v[54:55], -v[126:127]
	v_add_f64 v[54:55], v[62:63], -v[130:131]
	v_add_f64 v[62:63], v[8:9], v[78:79]
	v_fmac_f64_e32 v[128:129], -0.5, v[122:123]
	v_fmac_f64_e32 v[124:125], s[2:3], v[122:123]
	v_add_f64 v[122:123], v[62:63], v[70:71]
	v_add_f64 v[62:63], v[78:79], v[70:71]
	v_fmac_f64_e32 v[8:9], -0.5, v[62:63]
	v_add_f64 v[62:63], v[74:75], -v[66:67]
	v_add_f64 v[50:51], v[14:15], v[124:125]
	v_add_f64 v[14:15], v[14:15], -v[124:125]
	v_fma_f64 v[124:125], s[4:5], v[62:63], v[8:9]
	v_fmac_f64_e32 v[8:9], s[2:3], v[62:63]
	v_add_f64 v[62:63], v[10:11], v[74:75]
	v_add_f64 v[126:127], v[62:63], v[66:67]
	;; [unrolled: 1-line block ×3, first 2 shown]
	v_fmac_f64_e32 v[10:11], -0.5, v[62:63]
	v_add_f64 v[62:63], v[78:79], -v[70:71]
	v_fma_f64 v[74:75], s[2:3], v[62:63], v[10:11]
	v_fmac_f64_e32 v[10:11], s[4:5], v[62:63]
	v_add_f64 v[62:63], v[96:97], v[72:73]
	v_add_f64 v[78:79], v[62:63], v[64:65]
	;; [unrolled: 1-line block ×3, first 2 shown]
	v_fmac_f64_e32 v[96:97], -0.5, v[62:63]
	v_add_f64 v[62:63], v[68:69], -v[60:61]
	v_fma_f64 v[70:71], s[4:5], v[62:63], v[96:97]
	v_fmac_f64_e32 v[96:97], s[2:3], v[62:63]
	v_add_f64 v[62:63], v[76:77], v[68:69]
	v_add_f64 v[48:49], v[12:13], v[128:129]
	v_add_f64 v[12:13], v[12:13], -v[128:129]
	v_add_f64 v[128:129], v[62:63], v[60:61]
	v_add_f64 v[60:61], v[68:69], v[60:61]
	v_fmac_f64_e32 v[76:77], -0.5, v[60:61]
	v_add_f64 v[60:61], v[72:73], -v[64:65]
	v_fma_f64 v[62:63], s[2:3], v[60:61], v[76:77]
	v_fmac_f64_e32 v[76:77], s[4:5], v[60:61]
	v_add_f64 v[64:65], v[122:123], v[78:79]
	v_mul_f64 v[72:73], v[62:63], s[4:5]
	v_mul_f64 v[130:131], v[76:77], s[4:5]
	v_mul_f64 v[134:135], v[76:77], -0.5
	v_add_f64 v[76:77], v[122:123], -v[78:79]
	v_add_f64 v[122:123], v[86:87], v[98:99]
	v_fmac_f64_e32 v[72:73], 0.5, v[70:71]
	v_fmac_f64_e32 v[130:131], -0.5, v[96:97]
	v_fmac_f64_e32 v[134:135], s[2:3], v[96:97]
	v_add_f64 v[96:97], v[4:5], v[86:87]
	v_fmac_f64_e32 v[4:5], -0.5, v[122:123]
	v_add_f64 v[122:123], v[94:95], -v[120:121]
	v_add_f64 v[60:61], v[124:125], v[72:73]
	v_add_f64 v[72:73], v[124:125], -v[72:73]
	v_fma_f64 v[124:125], s[4:5], v[122:123], v[4:5]
	v_fmac_f64_e32 v[4:5], s[2:3], v[122:123]
	v_add_f64 v[122:123], v[6:7], v[94:95]
	v_add_f64 v[94:95], v[94:95], v[120:121]
	v_fmac_f64_e32 v[6:7], -0.5, v[94:95]
	v_add_f64 v[86:87], v[86:87], -v[98:99]
	v_fma_f64 v[94:95], s[2:3], v[86:87], v[6:7]
	v_fmac_f64_e32 v[6:7], s[4:5], v[86:87]
	v_add_f64 v[86:87], v[90:91], v[80:81]
	v_add_f64 v[96:97], v[96:97], v[98:99]
	v_add_f64 v[98:99], v[86:87], v[84:85]
	v_add_f64 v[86:87], v[80:81], v[84:85]
	v_mul_f64 v[46:47], v[140:141], s[4:5]
	v_fmac_f64_e32 v[90:91], -0.5, v[86:87]
	v_add_f64 v[86:87], v[82:83], -v[88:89]
	v_fmac_f64_e32 v[46:47], -0.5, v[138:139]
	v_add_f64 v[122:123], v[122:123], v[120:121]
	v_fma_f64 v[120:121], s[4:5], v[86:87], v[90:91]
	v_fmac_f64_e32 v[90:91], s[2:3], v[86:87]
	v_add_f64 v[86:87], v[92:93], v[82:83]
	v_add_f64 v[82:83], v[82:83], v[88:89]
	;; [unrolled: 1-line block ×3, first 2 shown]
	v_add_f64 v[16:17], v[16:17], -v[46:47]
	v_add_f64 v[46:47], v[58:59], v[132:133]
	v_add_f64 v[58:59], v[58:59], -v[132:133]
	v_mul_f64 v[132:133], v[62:63], 0.5
	v_fmac_f64_e32 v[92:93], -0.5, v[82:83]
	v_add_f64 v[80:81], v[80:81], -v[84:85]
	v_fmac_f64_e32 v[132:133], s[2:3], v[70:71]
	v_fma_f64 v[82:83], s[2:3], v[80:81], v[92:93]
	v_add_f64 v[66:67], v[126:127], v[128:129]
	v_add_f64 v[62:63], v[74:75], v[132:133]
	v_add_f64 v[78:79], v[126:127], -v[128:129]
	v_add_f64 v[74:75], v[74:75], -v[132:133]
	v_fmac_f64_e32 v[92:93], s[4:5], v[80:81]
	v_mul_f64 v[128:129], v[82:83], s[4:5]
	v_mul_f64 v[132:133], v[82:83], 0.5
	v_add_f64 v[126:127], v[86:87], v[88:89]
	v_fmac_f64_e32 v[128:129], 0.5, v[120:121]
	v_fmac_f64_e32 v[132:133], s[2:3], v[120:121]
	v_mul_f64 v[120:121], v[92:93], -0.5
	v_add_f64 v[68:69], v[8:9], v[130:131]
	v_add_f64 v[8:9], v[8:9], -v[130:131]
	v_add_f64 v[84:85], v[96:97], v[98:99]
	v_mul_f64 v[130:131], v[92:93], s[4:5]
	v_add_f64 v[86:87], v[122:123], v[126:127]
	v_fmac_f64_e32 v[120:121], s[2:3], v[90:91]
	v_add_f64 v[96:97], v[96:97], -v[98:99]
	v_add_f64 v[98:99], v[122:123], -v[126:127]
	v_add_f64 v[122:123], v[106:107], v[116:117]
	v_fmac_f64_e32 v[130:131], -0.5, v[90:91]
	v_add_f64 v[90:91], v[6:7], v[120:121]
	v_add_f64 v[6:7], v[6:7], -v[120:121]
	v_add_f64 v[120:121], v[0:1], v[106:107]
	v_fmac_f64_e32 v[0:1], -0.5, v[122:123]
	v_add_f64 v[122:123], v[114:115], -v[118:119]
	v_add_f64 v[80:81], v[124:125], v[128:129]
	v_add_f64 v[92:93], v[124:125], -v[128:129]
	v_fma_f64 v[124:125], s[4:5], v[122:123], v[0:1]
	v_fmac_f64_e32 v[0:1], s[2:3], v[122:123]
	v_add_f64 v[122:123], v[2:3], v[114:115]
	v_add_f64 v[114:115], v[114:115], v[118:119]
	v_fmac_f64_e32 v[2:3], -0.5, v[114:115]
	v_add_f64 v[106:107], v[106:107], -v[116:117]
	v_fma_f64 v[114:115], s[2:3], v[106:107], v[2:3]
	v_fmac_f64_e32 v[2:3], s[4:5], v[106:107]
	v_add_f64 v[106:107], v[110:111], v[100:101]
	v_add_f64 v[120:121], v[120:121], v[116:117]
	;; [unrolled: 1-line block ×4, first 2 shown]
	v_fmac_f64_e32 v[110:111], -0.5, v[106:107]
	v_add_f64 v[106:107], v[102:103], -v[108:109]
	v_add_f64 v[122:123], v[122:123], v[118:119]
	v_fma_f64 v[118:119], s[4:5], v[106:107], v[110:111]
	v_fmac_f64_e32 v[110:111], s[2:3], v[106:107]
	v_add_f64 v[106:107], v[112:113], v[102:103]
	v_add_f64 v[102:103], v[102:103], v[108:109]
	v_fmac_f64_e32 v[112:113], -0.5, v[102:103]
	v_add_f64 v[100:101], v[100:101], -v[104:105]
	v_fma_f64 v[102:103], s[2:3], v[100:101], v[112:113]
	v_fmac_f64_e32 v[112:113], s[4:5], v[100:101]
	v_add_f64 v[70:71], v[10:11], v[134:135]
	v_add_f64 v[10:11], v[10:11], -v[134:135]
	v_add_f64 v[88:89], v[4:5], v[130:131]
	v_add_f64 v[82:83], v[94:95], v[132:133]
	v_add_f64 v[4:5], v[4:5], -v[130:131]
	v_add_f64 v[94:95], v[94:95], -v[132:133]
	v_add_f64 v[126:127], v[106:107], v[108:109]
	v_mul_f64 v[128:129], v[102:103], s[4:5]
	v_mul_f64 v[130:131], v[112:113], s[4:5]
	v_mul_f64 v[132:133], v[102:103], 0.5
	v_mul_f64 v[134:135], v[112:113], -0.5
	v_add_f64 v[104:105], v[120:121], v[116:117]
	v_fmac_f64_e32 v[128:129], 0.5, v[118:119]
	v_fmac_f64_e32 v[130:131], -0.5, v[110:111]
	v_add_f64 v[106:107], v[122:123], v[126:127]
	v_fmac_f64_e32 v[132:133], s[2:3], v[118:119]
	v_fmac_f64_e32 v[134:135], s[2:3], v[110:111]
	v_add_f64 v[116:117], v[120:121], -v[116:117]
	v_add_f64 v[118:119], v[122:123], -v[126:127]
	v_accvgpr_read_b32 v123, a23
	v_add_f64 v[100:101], v[124:125], v[128:129]
	v_add_f64 v[108:109], v[0:1], v[130:131]
	;; [unrolled: 1-line block ×4, first 2 shown]
	v_add_f64 v[112:113], v[124:125], -v[128:129]
	v_add_f64 v[0:1], v[0:1], -v[130:131]
	;; [unrolled: 1-line block ×4, first 2 shown]
	v_accvgpr_read_b32 v122, a22
	s_barrier
	ds_write_b128 v164, v[24:27]
	ds_write_b128 v164, v[20:23] offset:1440
	ds_write_b128 v164, v[28:31] offset:2880
	ds_write_b128 v164, v[36:39] offset:4320
	ds_write_b128 v164, v[32:35] offset:5760
	ds_write_b128 v164, v[16:19] offset:7200
	ds_write_b128 v165, v[44:47]
	ds_write_b128 v165, v[40:43] offset:1440
	ds_write_b128 v165, v[48:51] offset:2880
	ds_write_b128 v165, v[56:59] offset:4320
	ds_write_b128 v165, v[52:55] offset:5760
	ds_write_b128 v165, v[12:15] offset:7200
	;; [unrolled: 6-line block ×5, first 2 shown]
	s_waitcnt lgkmcnt(0)
	s_barrier
	ds_read_b128 v[36:39], v197
	ds_read_b128 v[116:119], v197 offset:8640
	ds_read_b128 v[112:115], v197 offset:17280
	;; [unrolled: 1-line block ×29, first 2 shown]
	v_accvgpr_read_b32 v121, a21
	v_accvgpr_read_b32 v120, a20
	s_waitcnt lgkmcnt(14)
	v_mul_f64 v[136:137], v[122:123], v[118:119]
	v_fmac_f64_e32 v[136:137], v[120:121], v[116:117]
	v_mul_f64 v[116:117], v[122:123], v[116:117]
	v_fma_f64 v[138:139], v[120:121], v[118:119], -v[116:117]
	v_accvgpr_read_b32 v119, a11
	v_accvgpr_read_b32 v118, a10
	v_accvgpr_read_b32 v117, a9
	v_accvgpr_read_b32 v116, a8
	v_mul_f64 v[140:141], v[118:119], v[114:115]
	v_fmac_f64_e32 v[140:141], v[116:117], v[112:113]
	v_mul_f64 v[112:113], v[118:119], v[112:113]
	v_fma_f64 v[142:143], v[116:117], v[114:115], -v[112:113]
	v_accvgpr_read_b32 v115, a7
	v_accvgpr_read_b32 v114, a6
	v_accvgpr_read_b32 v113, a5
	v_accvgpr_read_b32 v112, a4
	;; [unrolled: 8-line block ×3, first 2 shown]
	v_mul_f64 v[148:149], v[110:111], v[106:107]
	v_fmac_f64_e32 v[148:149], v[108:109], v[104:105]
	v_mul_f64 v[104:105], v[110:111], v[104:105]
	v_fma_f64 v[150:151], v[108:109], v[106:107], -v[104:105]
	s_waitcnt lgkmcnt(3)
	v_mul_f64 v[106:107], v[254:255], v[30:31]
	v_fmac_f64_e32 v[106:107], v[252:253], v[28:29]
	v_mul_f64 v[28:29], v[254:255], v[28:29]
	v_mul_f64 v[152:153], v[162:163], v[102:103]
	v_mul_f64 v[122:123], v[156:157], v[98:99]
	v_mul_f64 v[126:127], v[192:193], v[90:91]
	v_fma_f64 v[114:115], v[252:253], v[30:31], -v[28:29]
	v_accvgpr_read_b32 v28, a32
	v_fmac_f64_e32 v[152:153], v[160:161], v[100:101]
	v_mul_f64 v[100:101], v[162:163], v[100:101]
	v_fmac_f64_e32 v[122:123], v[154:155], v[96:97]
	v_mul_f64 v[96:97], v[156:157], v[96:97]
	;; [unrolled: 2-line block ×3, first 2 shown]
	v_accvgpr_read_b32 v30, a34
	v_accvgpr_read_b32 v31, a35
	s_waitcnt lgkmcnt(0)
	v_mul_f64 v[104:105], v[206:207], v[14:15]
	v_fma_f64 v[158:159], v[160:161], v[102:103], -v[100:101]
	v_fma_f64 v[124:125], v[154:155], v[98:99], -v[96:97]
	;; [unrolled: 1-line block ×3, first 2 shown]
	v_accvgpr_read_b32 v91, a15
	v_mul_f64 v[96:97], v[176:177], v[78:79]
	v_accvgpr_read_b32 v29, a33
	v_mul_f64 v[100:101], v[30:31], v[22:23]
	v_fmac_f64_e32 v[104:105], v[204:205], v[12:13]
	v_mul_f64 v[12:13], v[206:207], v[12:13]
	v_accvgpr_read_b32 v90, a14
	v_fmac_f64_e32 v[96:97], v[174:175], v[76:77]
	v_mul_f64 v[76:77], v[176:177], v[76:77]
	v_fmac_f64_e32 v[100:101], v[28:29], v[20:21]
	v_mul_f64 v[20:21], v[30:31], v[20:21]
	v_fma_f64 v[108:109], v[204:205], v[14:15], -v[12:13]
	v_add_f64 v[12:13], v[36:37], v[140:141]
	v_accvgpr_read_b32 v89, a13
	v_accvgpr_read_b32 v88, a12
	v_mul_f64 v[156:157], v[90:91], v[86:87]
	v_mul_f64 v[130:131], v[180:181], v[82:83]
	v_fma_f64 v[76:77], v[174:175], v[78:79], -v[76:77]
	v_mul_f64 v[78:79], v[184:185], v[74:75]
	v_fma_f64 v[102:103], v[28:29], v[22:23], -v[20:21]
	v_add_f64 v[28:29], v[12:13], v[148:149]
	v_add_f64 v[12:13], v[140:141], v[148:149]
	v_fmac_f64_e32 v[156:157], v[88:89], v[84:85]
	v_mul_f64 v[84:85], v[90:91], v[84:85]
	v_fmac_f64_e32 v[130:131], v[178:179], v[80:81]
	v_mul_f64 v[80:81], v[180:181], v[80:81]
	v_fmac_f64_e32 v[78:79], v[182:183], v[72:73]
	v_mul_f64 v[72:73], v[184:185], v[72:73]
	v_mul_f64 v[110:111], v[200:201], v[34:35]
	v_fmac_f64_e32 v[36:37], -0.5, v[12:13]
	v_add_f64 v[12:13], v[142:143], -v[150:151]
	v_mul_f64 v[132:133], v[172:173], v[94:95]
	v_fma_f64 v[160:161], v[88:89], v[86:87], -v[84:85]
	v_fma_f64 v[134:135], v[178:179], v[82:83], -v[80:81]
	;; [unrolled: 1-line block ×3, first 2 shown]
	v_mul_f64 v[72:73], v[250:251], v[70:71]
	v_accvgpr_read_b32 v83, a19
	v_mul_f64 v[86:87], v[230:231], v[54:55]
	v_fmac_f64_e32 v[110:111], v[198:199], v[32:33]
	v_mul_f64 v[32:33], v[200:201], v[32:33]
	v_fma_f64 v[30:31], s[4:5], v[12:13], v[36:37]
	v_fmac_f64_e32 v[36:37], s[2:3], v[12:13]
	v_add_f64 v[12:13], v[38:39], v[142:143]
	v_fmac_f64_e32 v[132:133], v[170:171], v[92:93]
	v_mul_f64 v[92:93], v[172:173], v[92:93]
	v_fmac_f64_e32 v[72:73], v[248:249], v[68:69]
	v_mul_f64 v[68:69], v[250:251], v[68:69]
	v_accvgpr_read_b32 v82, a18
	v_fmac_f64_e32 v[86:87], v[228:229], v[52:53]
	v_mul_f64 v[52:53], v[230:231], v[52:53]
	v_mul_f64 v[84:85], v[242:243], v[42:43]
	v_fma_f64 v[112:113], v[198:199], v[34:35], -v[32:33]
	v_add_f64 v[34:35], v[12:13], v[150:151]
	v_add_f64 v[12:13], v[142:143], v[150:151]
	v_fma_f64 v[154:155], v[170:171], v[94:95], -v[92:93]
	v_fma_f64 v[68:69], v[248:249], v[70:71], -v[68:69]
	v_accvgpr_read_b32 v81, a17
	v_accvgpr_read_b32 v80, a16
	v_mul_f64 v[70:71], v[82:83], v[66:67]
	v_fma_f64 v[94:95], v[228:229], v[54:55], -v[52:53]
	v_accvgpr_read_b32 v55, a27
	v_fmac_f64_e32 v[84:85], v[240:241], v[40:41]
	v_mul_f64 v[40:41], v[242:243], v[40:41]
	v_fmac_f64_e32 v[38:39], -0.5, v[12:13]
	v_add_f64 v[12:13], v[140:141], -v[148:149]
	v_fmac_f64_e32 v[70:71], v[80:81], v[64:65]
	v_mul_f64 v[64:65], v[82:83], v[64:65]
	v_accvgpr_read_b32 v54, a26
	v_fma_f64 v[88:89], v[240:241], v[42:43], -v[40:41]
	v_fma_f64 v[40:41], s[2:3], v[12:13], v[38:39]
	v_fmac_f64_e32 v[38:39], s[4:5], v[12:13]
	v_add_f64 v[12:13], v[136:137], v[144:145]
	v_fma_f64 v[66:67], v[80:81], v[66:67], -v[64:65]
	v_accvgpr_read_b32 v53, a25
	v_accvgpr_read_b32 v52, a24
	v_mul_f64 v[80:81], v[54:55], v[50:51]
	v_add_f64 v[32:33], v[12:13], v[152:153]
	v_add_f64 v[12:13], v[144:145], v[152:153]
	v_fmac_f64_e32 v[80:81], v[52:53], v[48:49]
	v_mul_f64 v[48:49], v[54:55], v[48:49]
	v_fmac_f64_e32 v[136:137], -0.5, v[12:13]
	v_add_f64 v[12:13], v[146:147], -v[158:159]
	v_fma_f64 v[82:83], v[52:53], v[50:51], -v[48:49]
	v_accvgpr_read_b32 v51, a31
	v_accvgpr_read_b32 v20, a36
	v_fma_f64 v[14:15], s[4:5], v[12:13], v[136:137]
	v_fmac_f64_e32 v[136:137], s[2:3], v[12:13]
	v_add_f64 v[12:13], v[138:139], v[146:147]
	v_accvgpr_read_b32 v50, a30
	v_accvgpr_read_b32 v22, a38
	;; [unrolled: 1-line block ×3, first 2 shown]
	v_add_f64 v[42:43], v[12:13], v[158:159]
	v_add_f64 v[12:13], v[146:147], v[158:159]
	v_accvgpr_read_b32 v49, a29
	v_accvgpr_read_b32 v48, a28
	v_mul_f64 v[98:99], v[50:51], v[46:47]
	v_accvgpr_read_b32 v21, a37
	v_mul_f64 v[116:117], v[22:23], v[18:19]
	v_fmac_f64_e32 v[138:139], -0.5, v[12:13]
	v_add_f64 v[12:13], v[144:145], -v[152:153]
	v_fmac_f64_e32 v[98:99], v[48:49], v[44:45]
	v_mul_f64 v[44:45], v[50:51], v[44:45]
	v_fmac_f64_e32 v[116:117], v[20:21], v[16:17]
	v_mul_f64 v[16:17], v[22:23], v[16:17]
	v_fma_f64 v[22:23], s[2:3], v[12:13], v[138:139]
	v_fma_f64 v[120:121], v[48:49], v[46:47], -v[44:45]
	v_mul_f64 v[44:45], v[22:23], s[4:5]
	v_mul_f64 v[48:49], v[22:23], 0.5
	v_fmac_f64_e32 v[44:45], 0.5, v[14:15]
	v_fmac_f64_e32 v[48:49], s[2:3], v[14:15]
	v_fma_f64 v[118:119], v[20:21], v[18:19], -v[16:17]
	v_fmac_f64_e32 v[138:139], s[4:5], v[12:13]
	v_add_f64 v[16:17], v[28:29], v[32:33]
	v_add_f64 v[12:13], v[30:31], v[44:45]
	;; [unrolled: 1-line block ×3, first 2 shown]
	v_add_f64 v[32:33], v[28:29], -v[32:33]
	v_add_f64 v[28:29], v[30:31], -v[44:45]
	;; [unrolled: 1-line block ×3, first 2 shown]
	v_add_f64 v[40:41], v[24:25], v[132:133]
	v_add_f64 v[52:53], v[40:41], v[156:157]
	;; [unrolled: 1-line block ×3, first 2 shown]
	v_mul_f64 v[90:91], v[188:189], v[58:59]
	v_fmac_f64_e32 v[24:25], -0.5, v[40:41]
	v_add_f64 v[40:41], v[154:155], -v[160:161]
	v_fmac_f64_e32 v[90:91], v[186:187], v[56:57]
	v_mul_f64 v[56:57], v[188:189], v[56:57]
	v_fma_f64 v[54:55], s[4:5], v[40:41], v[24:25]
	v_fmac_f64_e32 v[24:25], s[2:3], v[40:41]
	v_add_f64 v[40:41], v[26:27], v[154:155]
	v_mul_f64 v[64:65], v[210:211], v[62:63]
	v_fma_f64 v[92:93], v[186:187], v[58:59], -v[56:57]
	v_add_f64 v[58:59], v[40:41], v[160:161]
	v_add_f64 v[40:41], v[154:155], v[160:161]
	v_fmac_f64_e32 v[64:65], v[208:209], v[60:61]
	v_mul_f64 v[60:61], v[210:211], v[60:61]
	v_fmac_f64_e32 v[26:27], -0.5, v[40:41]
	v_add_f64 v[40:41], v[132:133], -v[156:157]
	v_fma_f64 v[60:61], v[208:209], v[62:63], -v[60:61]
	v_fma_f64 v[62:63], s[2:3], v[40:41], v[26:27]
	v_fmac_f64_e32 v[26:27], s[4:5], v[40:41]
	v_add_f64 v[40:41], v[122:123], v[126:127]
	v_add_f64 v[56:57], v[40:41], v[130:131]
	;; [unrolled: 1-line block ×3, first 2 shown]
	v_fmac_f64_e32 v[122:123], -0.5, v[40:41]
	v_add_f64 v[40:41], v[128:129], -v[134:135]
	v_add_f64 v[18:19], v[34:35], v[42:43]
	v_add_f64 v[34:35], v[34:35], -v[42:43]
	v_fma_f64 v[42:43], s[4:5], v[40:41], v[122:123]
	v_fmac_f64_e32 v[122:123], s[2:3], v[40:41]
	v_add_f64 v[40:41], v[124:125], v[128:129]
	v_mul_f64 v[50:51], v[138:139], -0.5
	v_add_f64 v[132:133], v[40:41], v[134:135]
	v_add_f64 v[40:41], v[128:129], v[134:135]
	v_fmac_f64_e32 v[50:51], s[2:3], v[136:137]
	v_fmac_f64_e32 v[124:125], -0.5, v[40:41]
	v_add_f64 v[40:41], v[126:127], -v[130:131]
	v_add_f64 v[22:23], v[38:39], v[50:51]
	v_add_f64 v[38:39], v[38:39], -v[50:51]
	v_fma_f64 v[50:51], s[2:3], v[40:41], v[124:125]
	v_mul_f64 v[126:127], v[50:51], s[4:5]
	v_mul_f64 v[130:131], v[50:51], 0.5
	v_fmac_f64_e32 v[124:125], s[4:5], v[40:41]
	v_fmac_f64_e32 v[126:127], 0.5, v[42:43]
	v_fmac_f64_e32 v[130:131], s[2:3], v[42:43]
	v_add_f64 v[44:45], v[52:53], v[56:57]
	v_add_f64 v[40:41], v[54:55], v[126:127]
	v_mul_f64 v[128:129], v[124:125], s[4:5]
	v_add_f64 v[42:43], v[62:63], v[130:131]
	v_mul_f64 v[124:125], v[124:125], -0.5
	v_add_f64 v[56:57], v[52:53], -v[56:57]
	v_add_f64 v[52:53], v[54:55], -v[126:127]
	;; [unrolled: 1-line block ×3, first 2 shown]
	v_add_f64 v[62:63], v[8:9], v[78:79]
	v_fmac_f64_e32 v[128:129], -0.5, v[122:123]
	v_fmac_f64_e32 v[124:125], s[2:3], v[122:123]
	v_add_f64 v[122:123], v[62:63], v[70:71]
	v_add_f64 v[62:63], v[78:79], v[70:71]
	v_fmac_f64_e32 v[8:9], -0.5, v[62:63]
	v_add_f64 v[62:63], v[74:75], -v[66:67]
	v_add_f64 v[50:51], v[26:27], v[124:125]
	v_add_f64 v[26:27], v[26:27], -v[124:125]
	v_fma_f64 v[124:125], s[4:5], v[62:63], v[8:9]
	v_fmac_f64_e32 v[8:9], s[2:3], v[62:63]
	v_add_f64 v[62:63], v[10:11], v[74:75]
	v_add_f64 v[126:127], v[62:63], v[66:67]
	;; [unrolled: 1-line block ×3, first 2 shown]
	v_fmac_f64_e32 v[10:11], -0.5, v[62:63]
	v_add_f64 v[62:63], v[78:79], -v[70:71]
	v_fma_f64 v[74:75], s[2:3], v[62:63], v[10:11]
	v_fmac_f64_e32 v[10:11], s[4:5], v[62:63]
	v_add_f64 v[62:63], v[96:97], v[72:73]
	v_add_f64 v[78:79], v[62:63], v[64:65]
	;; [unrolled: 1-line block ×3, first 2 shown]
	v_fmac_f64_e32 v[96:97], -0.5, v[62:63]
	v_add_f64 v[62:63], v[68:69], -v[60:61]
	v_fma_f64 v[70:71], s[4:5], v[62:63], v[96:97]
	v_fmac_f64_e32 v[96:97], s[2:3], v[62:63]
	v_add_f64 v[62:63], v[76:77], v[68:69]
	v_add_f64 v[48:49], v[24:25], v[128:129]
	v_add_f64 v[24:25], v[24:25], -v[128:129]
	v_add_f64 v[128:129], v[62:63], v[60:61]
	v_add_f64 v[60:61], v[68:69], v[60:61]
	v_fmac_f64_e32 v[76:77], -0.5, v[60:61]
	v_add_f64 v[60:61], v[72:73], -v[64:65]
	v_fma_f64 v[62:63], s[2:3], v[60:61], v[76:77]
	v_fmac_f64_e32 v[76:77], s[4:5], v[60:61]
	v_add_f64 v[64:65], v[122:123], v[78:79]
	v_mul_f64 v[72:73], v[62:63], s[4:5]
	v_mul_f64 v[130:131], v[76:77], s[4:5]
	v_mul_f64 v[134:135], v[76:77], -0.5
	v_add_f64 v[76:77], v[122:123], -v[78:79]
	v_add_f64 v[122:123], v[86:87], v[98:99]
	v_fmac_f64_e32 v[72:73], 0.5, v[70:71]
	v_fmac_f64_e32 v[130:131], -0.5, v[96:97]
	v_fmac_f64_e32 v[134:135], s[2:3], v[96:97]
	v_add_f64 v[96:97], v[4:5], v[86:87]
	v_fmac_f64_e32 v[4:5], -0.5, v[122:123]
	v_add_f64 v[122:123], v[94:95], -v[120:121]
	v_add_f64 v[60:61], v[124:125], v[72:73]
	v_add_f64 v[72:73], v[124:125], -v[72:73]
	v_fma_f64 v[124:125], s[4:5], v[122:123], v[4:5]
	v_fmac_f64_e32 v[4:5], s[2:3], v[122:123]
	v_add_f64 v[122:123], v[6:7], v[94:95]
	v_add_f64 v[94:95], v[94:95], v[120:121]
	v_fmac_f64_e32 v[6:7], -0.5, v[94:95]
	v_add_f64 v[86:87], v[86:87], -v[98:99]
	v_fma_f64 v[94:95], s[2:3], v[86:87], v[6:7]
	v_fmac_f64_e32 v[6:7], s[4:5], v[86:87]
	v_add_f64 v[86:87], v[90:91], v[80:81]
	v_add_f64 v[96:97], v[96:97], v[98:99]
	;; [unrolled: 1-line block ×4, first 2 shown]
	v_mul_f64 v[46:47], v[138:139], s[4:5]
	v_fmac_f64_e32 v[90:91], -0.5, v[86:87]
	v_add_f64 v[86:87], v[82:83], -v[88:89]
	v_fmac_f64_e32 v[46:47], -0.5, v[136:137]
	v_add_f64 v[122:123], v[122:123], v[120:121]
	v_fma_f64 v[120:121], s[4:5], v[86:87], v[90:91]
	v_fmac_f64_e32 v[90:91], s[2:3], v[86:87]
	v_add_f64 v[86:87], v[92:93], v[82:83]
	v_add_f64 v[82:83], v[82:83], v[88:89]
	;; [unrolled: 1-line block ×3, first 2 shown]
	v_add_f64 v[36:37], v[36:37], -v[46:47]
	v_add_f64 v[46:47], v[58:59], v[132:133]
	v_add_f64 v[58:59], v[58:59], -v[132:133]
	v_mul_f64 v[132:133], v[62:63], 0.5
	v_fmac_f64_e32 v[92:93], -0.5, v[82:83]
	v_add_f64 v[80:81], v[80:81], -v[84:85]
	v_fmac_f64_e32 v[132:133], s[2:3], v[70:71]
	v_fma_f64 v[82:83], s[2:3], v[80:81], v[92:93]
	v_add_f64 v[66:67], v[126:127], v[128:129]
	v_add_f64 v[62:63], v[74:75], v[132:133]
	v_add_f64 v[78:79], v[126:127], -v[128:129]
	v_add_f64 v[74:75], v[74:75], -v[132:133]
	v_fmac_f64_e32 v[92:93], s[4:5], v[80:81]
	v_mul_f64 v[128:129], v[82:83], s[4:5]
	v_mul_f64 v[132:133], v[82:83], 0.5
	v_add_f64 v[126:127], v[86:87], v[88:89]
	v_fmac_f64_e32 v[128:129], 0.5, v[120:121]
	v_fmac_f64_e32 v[132:133], s[2:3], v[120:121]
	v_mul_f64 v[120:121], v[92:93], -0.5
	v_add_f64 v[68:69], v[8:9], v[130:131]
	v_add_f64 v[8:9], v[8:9], -v[130:131]
	v_add_f64 v[84:85], v[96:97], v[98:99]
	v_mul_f64 v[130:131], v[92:93], s[4:5]
	v_add_f64 v[86:87], v[122:123], v[126:127]
	v_fmac_f64_e32 v[120:121], s[2:3], v[90:91]
	v_add_f64 v[96:97], v[96:97], -v[98:99]
	v_add_f64 v[98:99], v[122:123], -v[126:127]
	v_add_f64 v[122:123], v[106:107], v[116:117]
	v_fmac_f64_e32 v[130:131], -0.5, v[90:91]
	v_add_f64 v[90:91], v[6:7], v[120:121]
	v_add_f64 v[6:7], v[6:7], -v[120:121]
	v_add_f64 v[120:121], v[0:1], v[106:107]
	v_fmac_f64_e32 v[0:1], -0.5, v[122:123]
	v_add_f64 v[122:123], v[114:115], -v[118:119]
	v_add_f64 v[80:81], v[124:125], v[128:129]
	v_add_f64 v[92:93], v[124:125], -v[128:129]
	v_fma_f64 v[124:125], s[4:5], v[122:123], v[0:1]
	v_fmac_f64_e32 v[0:1], s[2:3], v[122:123]
	v_add_f64 v[122:123], v[2:3], v[114:115]
	v_add_f64 v[114:115], v[114:115], v[118:119]
	v_fmac_f64_e32 v[2:3], -0.5, v[114:115]
	v_add_f64 v[106:107], v[106:107], -v[116:117]
	v_fma_f64 v[114:115], s[2:3], v[106:107], v[2:3]
	v_fmac_f64_e32 v[2:3], s[4:5], v[106:107]
	v_add_f64 v[106:107], v[110:111], v[100:101]
	v_add_f64 v[120:121], v[120:121], v[116:117]
	;; [unrolled: 1-line block ×4, first 2 shown]
	v_fmac_f64_e32 v[110:111], -0.5, v[106:107]
	v_add_f64 v[106:107], v[102:103], -v[108:109]
	v_add_f64 v[122:123], v[122:123], v[118:119]
	v_fma_f64 v[118:119], s[4:5], v[106:107], v[110:111]
	v_fmac_f64_e32 v[110:111], s[2:3], v[106:107]
	v_add_f64 v[106:107], v[112:113], v[102:103]
	v_add_f64 v[102:103], v[102:103], v[108:109]
	v_fmac_f64_e32 v[112:113], -0.5, v[102:103]
	v_add_f64 v[100:101], v[100:101], -v[104:105]
	v_fma_f64 v[102:103], s[2:3], v[100:101], v[112:113]
	v_fmac_f64_e32 v[112:113], s[4:5], v[100:101]
	v_add_f64 v[70:71], v[10:11], v[134:135]
	v_add_f64 v[10:11], v[10:11], -v[134:135]
	v_add_f64 v[88:89], v[4:5], v[130:131]
	v_add_f64 v[4:5], v[4:5], -v[130:131]
	v_mul_f64 v[130:131], v[112:113], s[4:5]
	v_mul_f64 v[134:135], v[112:113], -0.5
	v_add_f64 v[82:83], v[94:95], v[132:133]
	v_add_f64 v[94:95], v[94:95], -v[132:133]
	v_mul_f64 v[128:129], v[102:103], s[4:5]
	v_fmac_f64_e32 v[130:131], -0.5, v[110:111]
	v_mul_f64 v[132:133], v[102:103], 0.5
	v_fmac_f64_e32 v[134:135], s[2:3], v[110:111]
	v_add_f64 v[126:127], v[106:107], v[108:109]
	v_fmac_f64_e32 v[128:129], 0.5, v[118:119]
	v_add_f64 v[108:109], v[0:1], v[130:131]
	v_fmac_f64_e32 v[132:133], s[2:3], v[118:119]
	v_add_f64 v[110:111], v[2:3], v[134:135]
	v_add_f64 v[0:1], v[0:1], -v[130:131]
	v_add_f64 v[2:3], v[2:3], -v[134:135]
	v_add_f64 v[104:105], v[120:121], v[116:117]
	v_add_f64 v[100:101], v[124:125], v[128:129]
	v_add_f64 v[106:107], v[122:123], v[126:127]
	v_add_f64 v[102:103], v[114:115], v[132:133]
	v_add_f64 v[116:117], v[120:121], -v[116:117]
	v_add_f64 v[112:113], v[124:125], -v[128:129]
	;; [unrolled: 1-line block ×4, first 2 shown]
	ds_write_b128 v197, v[16:19]
	ds_write_b128 v197, v[12:15] offset:8640
	ds_write_b128 v197, v[20:23] offset:17280
	;; [unrolled: 1-line block ×29, first 2 shown]
	s_waitcnt lgkmcnt(0)
	s_barrier
	ds_read_b128 v[0:3], v197
	buffer_load_dword v6, off, s[36:39], 0 offset:76 ; 4-byte Folded Reload
	buffer_load_dword v7, off, s[36:39], 0 offset:80 ; 4-byte Folded Reload
	v_accvgpr_read_b32 v8, a55              ;  Reload Reuse
	s_mov_b32 s2, 0x30abee4d
	s_mov_b32 s3, 0x3f343a27
	s_waitcnt vmcnt(0)
	v_accvgpr_read_b32 v9, a54              ;  Reload Reuse
	s_waitcnt lgkmcnt(0)
	v_mul_f64 v[4:5], v[8:9], v[2:3]
	v_fmac_f64_e32 v[4:5], v[6:7], v[0:1]
	v_mul_f64 v[0:1], v[8:9], v[0:1]
	v_fma_f64 v[0:1], v[6:7], v[2:3], -v[0:1]
	v_accvgpr_read_b32 v3, a222
	v_mul_f64 v[6:7], v[0:1], s[2:3]
	v_mad_u64_u32 v[0:1], s[4:5], s0, v3, 0
	v_mov_b32_e32 v2, v1
	v_mad_u64_u32 v[2:3], s[4:5], s1, v3, v[2:3]
	v_mov_b32_e32 v1, v2
	v_accvgpr_read_b32 v2, a188
	v_accvgpr_read_b32 v3, a189
	v_lshlrev_b64 v[2:3], 4, v[2:3]
	v_add_co_u32_e32 v2, vcc, s12, v2
	v_mov_b32_e32 v8, s13
	v_addc_co_u32_e32 v3, vcc, v8, v3, vcc
	v_lshlrev_b64 v[0:1], 4, v[0:1]
	v_add_co_u32_e32 v8, vcc, v2, v0
	v_mul_f64 v[4:5], v[4:5], s[2:3]
	v_addc_co_u32_e32 v9, vcc, v3, v1, vcc
	global_store_dwordx4 v[8:9], v[4:7], off
	ds_read_b128 v[0:3], v197 offset:17280
	buffer_load_dword v10, off, s[36:39], 0 offset:92 ; 4-byte Folded Reload
	buffer_load_dword v11, off, s[36:39], 0 offset:96 ; 4-byte Folded Reload
	;; [unrolled: 1-line block ×4, first 2 shown]
	v_mad_u64_u32 v[8:9], s[4:5], s0, v196, v[8:9]
	s_mul_i32 s4, s1, 0x4380
	v_add_u32_e32 v9, s4, v9
	s_mul_i32 s1, s1, 0xffff7fc0
	s_sub_i32 s1, s1, s0
	s_waitcnt vmcnt(0) lgkmcnt(0)
	v_mul_f64 v[4:5], v[12:13], v[2:3]
	v_fmac_f64_e32 v[4:5], v[10:11], v[0:1]
	v_mul_f64 v[0:1], v[12:13], v[0:1]
	v_fma_f64 v[0:1], v[10:11], v[2:3], -v[0:1]
	v_mul_f64 v[4:5], v[4:5], s[2:3]
	v_mul_f64 v[6:7], v[0:1], s[2:3]
	global_store_dwordx4 v[8:9], v[4:7], off
	ds_read_b128 v[0:3], v197 offset:34560
	buffer_load_dword v10, off, s[36:39], 0 offset:108 ; 4-byte Folded Reload
	buffer_load_dword v11, off, s[36:39], 0 offset:112 ; 4-byte Folded Reload
	;; [unrolled: 1-line block ×4, first 2 shown]
	v_mad_u64_u32 v[8:9], s[6:7], s0, v196, v[8:9]
	v_add_u32_e32 v9, s4, v9
	s_waitcnt vmcnt(0) lgkmcnt(0)
	v_mul_f64 v[4:5], v[12:13], v[2:3]
	v_fmac_f64_e32 v[4:5], v[10:11], v[0:1]
	v_mul_f64 v[0:1], v[12:13], v[0:1]
	v_fma_f64 v[0:1], v[10:11], v[2:3], -v[0:1]
	v_mul_f64 v[4:5], v[4:5], s[2:3]
	v_mul_f64 v[6:7], v[0:1], s[2:3]
	global_store_dwordx4 v[8:9], v[4:7], off
	ds_read_b128 v[0:3], v197 offset:1728
	buffer_load_dword v10, off, s[36:39], 0 offset:124 ; 4-byte Folded Reload
	buffer_load_dword v11, off, s[36:39], 0 offset:128 ; 4-byte Folded Reload
	;; [unrolled: 1-line block ×4, first 2 shown]
	s_waitcnt vmcnt(0) lgkmcnt(0)
	v_mul_f64 v[4:5], v[12:13], v[2:3]
	v_fmac_f64_e32 v[4:5], v[10:11], v[0:1]
	v_mul_f64 v[0:1], v[12:13], v[0:1]
	v_fma_f64 v[0:1], v[10:11], v[2:3], -v[0:1]
	v_mov_b32_e32 v10, 0xffff7fc0
	v_mad_u64_u32 v[8:9], s[6:7], s0, v10, v[8:9]
	v_mul_f64 v[4:5], v[4:5], s[2:3]
	v_mul_f64 v[6:7], v[0:1], s[2:3]
	v_add_u32_e32 v9, s1, v9
	global_store_dwordx4 v[8:9], v[4:7], off
	ds_read_b128 v[0:3], v197 offset:19008
	buffer_load_dword v12, off, s[36:39], 0 offset:140 ; 4-byte Folded Reload
	buffer_load_dword v13, off, s[36:39], 0 offset:144 ; 4-byte Folded Reload
	;; [unrolled: 1-line block ×4, first 2 shown]
	v_mad_u64_u32 v[8:9], s[6:7], s0, v196, v[8:9]
	v_add_u32_e32 v9, s4, v9
	s_waitcnt vmcnt(0) lgkmcnt(0)
	v_mul_f64 v[4:5], v[14:15], v[2:3]
	v_fmac_f64_e32 v[4:5], v[12:13], v[0:1]
	v_mul_f64 v[0:1], v[14:15], v[0:1]
	v_fma_f64 v[0:1], v[12:13], v[2:3], -v[0:1]
	v_mul_f64 v[4:5], v[4:5], s[2:3]
	v_mul_f64 v[6:7], v[0:1], s[2:3]
	global_store_dwordx4 v[8:9], v[4:7], off
	ds_read_b128 v[0:3], v197 offset:36288
	buffer_load_dword v12, off, s[36:39], 0 offset:156 ; 4-byte Folded Reload
	buffer_load_dword v13, off, s[36:39], 0 offset:160 ; 4-byte Folded Reload
	;; [unrolled: 1-line block ×4, first 2 shown]
	v_mad_u64_u32 v[8:9], s[6:7], s0, v196, v[8:9]
	v_add_u32_e32 v9, s4, v9
	s_waitcnt vmcnt(0) lgkmcnt(0)
	v_mul_f64 v[4:5], v[14:15], v[2:3]
	v_fmac_f64_e32 v[4:5], v[12:13], v[0:1]
	v_mul_f64 v[0:1], v[14:15], v[0:1]
	v_fma_f64 v[0:1], v[12:13], v[2:3], -v[0:1]
	v_mul_f64 v[4:5], v[4:5], s[2:3]
	v_mul_f64 v[6:7], v[0:1], s[2:3]
	global_store_dwordx4 v[8:9], v[4:7], off
	ds_read_b128 v[0:3], v197 offset:3456
	buffer_load_dword v12, off, s[36:39], 0 offset:172 ; 4-byte Folded Reload
	buffer_load_dword v13, off, s[36:39], 0 offset:176 ; 4-byte Folded Reload
	buffer_load_dword v14, off, s[36:39], 0 offset:180 ; 4-byte Folded Reload
	buffer_load_dword v15, off, s[36:39], 0 offset:184 ; 4-byte Folded Reload
	v_mad_u64_u32 v[8:9], s[6:7], s0, v10, v[8:9]
	v_add_u32_e32 v9, s1, v9
	v_mov_b32_e32 v10, 0xffff7fc0
	s_waitcnt vmcnt(0) lgkmcnt(0)
	v_mul_f64 v[4:5], v[14:15], v[2:3]
	v_fmac_f64_e32 v[4:5], v[12:13], v[0:1]
	v_mul_f64 v[0:1], v[14:15], v[0:1]
	v_fma_f64 v[0:1], v[12:13], v[2:3], -v[0:1]
	v_mul_f64 v[4:5], v[4:5], s[2:3]
	v_mul_f64 v[6:7], v[0:1], s[2:3]
	global_store_dwordx4 v[8:9], v[4:7], off
	ds_read_b128 v[0:3], v197 offset:20736
	buffer_load_dword v12, off, s[36:39], 0 offset:188 ; 4-byte Folded Reload
	buffer_load_dword v13, off, s[36:39], 0 offset:192 ; 4-byte Folded Reload
	buffer_load_dword v14, off, s[36:39], 0 offset:196 ; 4-byte Folded Reload
	buffer_load_dword v15, off, s[36:39], 0 offset:200 ; 4-byte Folded Reload
	v_mad_u64_u32 v[8:9], s[6:7], s0, v196, v[8:9]
	v_add_u32_e32 v9, s4, v9
	s_waitcnt vmcnt(0) lgkmcnt(0)
	v_mul_f64 v[4:5], v[14:15], v[2:3]
	v_fmac_f64_e32 v[4:5], v[12:13], v[0:1]
	v_mul_f64 v[0:1], v[14:15], v[0:1]
	v_fma_f64 v[0:1], v[12:13], v[2:3], -v[0:1]
	v_mul_f64 v[4:5], v[4:5], s[2:3]
	v_mul_f64 v[6:7], v[0:1], s[2:3]
	global_store_dwordx4 v[8:9], v[4:7], off
	ds_read_b128 v[0:3], v197 offset:38016
	buffer_load_dword v12, off, s[36:39], 0 offset:220 ; 4-byte Folded Reload
	buffer_load_dword v13, off, s[36:39], 0 offset:224 ; 4-byte Folded Reload
	buffer_load_dword v14, off, s[36:39], 0 offset:228 ; 4-byte Folded Reload
	buffer_load_dword v15, off, s[36:39], 0 offset:232 ; 4-byte Folded Reload
	v_mad_u64_u32 v[8:9], s[6:7], s0, v196, v[8:9]
	v_add_u32_e32 v9, s4, v9
	;; [unrolled: 15-line block ×20, first 2 shown]
	v_mad_u64_u32 v[10:11], s[6:7], s0, v10, v[8:9]
	v_add_u32_e32 v11, s1, v11
	s_waitcnt vmcnt(0) lgkmcnt(0)
	v_mul_f64 v[4:5], v[14:15], v[2:3]
	v_fmac_f64_e32 v[4:5], v[12:13], v[0:1]
	v_mul_f64 v[0:1], v[14:15], v[0:1]
	v_fma_f64 v[0:1], v[12:13], v[2:3], -v[0:1]
	v_mul_f64 v[4:5], v[4:5], s[2:3]
	v_mul_f64 v[6:7], v[0:1], s[2:3]
	global_store_dwordx4 v[8:9], v[4:7], off
	ds_read_b128 v[0:3], v197 offset:15552
	buffer_load_dword v12, off, s[36:39], 0 offset:508 ; 4-byte Folded Reload
	buffer_load_dword v13, off, s[36:39], 0 offset:512 ; 4-byte Folded Reload
	;; [unrolled: 1-line block ×4, first 2 shown]
	s_waitcnt vmcnt(0) lgkmcnt(0)
	v_mul_f64 v[4:5], v[14:15], v[2:3]
	v_fmac_f64_e32 v[4:5], v[12:13], v[0:1]
	v_mul_f64 v[0:1], v[14:15], v[0:1]
	v_fma_f64 v[0:1], v[12:13], v[2:3], -v[0:1]
	v_mul_f64 v[4:5], v[4:5], s[2:3]
	v_mul_f64 v[6:7], v[0:1], s[2:3]
	global_store_dwordx4 v[10:11], v[4:7], off
	ds_read_b128 v[0:3], v197 offset:32832
	buffer_load_dword v12, off, s[36:39], 0 offset:540 ; 4-byte Folded Reload
	buffer_load_dword v13, off, s[36:39], 0 offset:544 ; 4-byte Folded Reload
	;; [unrolled: 1-line block ×4, first 2 shown]
	s_waitcnt vmcnt(0) lgkmcnt(0)
	v_mul_f64 v[4:5], v[14:15], v[2:3]
	v_fmac_f64_e32 v[4:5], v[12:13], v[0:1]
	v_mul_f64 v[0:1], v[14:15], v[0:1]
	v_mul_f64 v[6:7], v[4:5], s[2:3]
	v_fma_f64 v[0:1], v[12:13], v[2:3], -v[0:1]
	v_mad_u64_u32 v[4:5], s[6:7], s0, v196, v[10:11]
	v_mul_f64 v[8:9], v[0:1], s[2:3]
	v_add_u32_e32 v5, s4, v5
	global_store_dwordx4 v[4:5], v[6:9], off
	ds_read_b128 v[0:3], v197 offset:50112
	buffer_load_dword v8, off, s[36:39], 0 offset:204 ; 4-byte Folded Reload
	buffer_load_dword v9, off, s[36:39], 0 offset:208 ; 4-byte Folded Reload
	;; [unrolled: 1-line block ×4, first 2 shown]
	s_waitcnt vmcnt(0) lgkmcnt(0)
	v_mul_f64 v[6:7], v[10:11], v[2:3]
	v_fmac_f64_e32 v[6:7], v[8:9], v[0:1]
	v_mul_f64 v[0:1], v[10:11], v[0:1]
	v_fma_f64 v[0:1], v[8:9], v[2:3], -v[0:1]
	v_mul_f64 v[8:9], v[0:1], s[2:3]
	v_mad_u64_u32 v[0:1], s[0:1], s0, v196, v[4:5]
	v_mul_f64 v[6:7], v[6:7], s[2:3]
	v_add_u32_e32 v1, s4, v1
	global_store_dwordx4 v[0:1], v[6:9], off
.LBB0_2:
	s_endpgm
	.section	.rodata,"a",@progbits
	.p2align	6, 0x0
	.amdhsa_kernel bluestein_single_back_len3240_dim1_dp_op_CI_CI
		.amdhsa_group_segment_fixed_size 51840
		.amdhsa_private_segment_fixed_size 768
		.amdhsa_kernarg_size 104
		.amdhsa_user_sgpr_count 6
		.amdhsa_user_sgpr_private_segment_buffer 1
		.amdhsa_user_sgpr_dispatch_ptr 0
		.amdhsa_user_sgpr_queue_ptr 0
		.amdhsa_user_sgpr_kernarg_segment_ptr 1
		.amdhsa_user_sgpr_dispatch_id 0
		.amdhsa_user_sgpr_flat_scratch_init 0
		.amdhsa_user_sgpr_kernarg_preload_length 0
		.amdhsa_user_sgpr_kernarg_preload_offset 0
		.amdhsa_user_sgpr_private_segment_size 0
		.amdhsa_uses_dynamic_stack 0
		.amdhsa_system_sgpr_private_segment_wavefront_offset 1
		.amdhsa_system_sgpr_workgroup_id_x 1
		.amdhsa_system_sgpr_workgroup_id_y 0
		.amdhsa_system_sgpr_workgroup_id_z 0
		.amdhsa_system_sgpr_workgroup_info 0
		.amdhsa_system_vgpr_workitem_id 0
		.amdhsa_next_free_vgpr 512
		.amdhsa_next_free_sgpr 40
		.amdhsa_accum_offset 256
		.amdhsa_reserve_vcc 1
		.amdhsa_reserve_flat_scratch 0
		.amdhsa_float_round_mode_32 0
		.amdhsa_float_round_mode_16_64 0
		.amdhsa_float_denorm_mode_32 3
		.amdhsa_float_denorm_mode_16_64 3
		.amdhsa_dx10_clamp 1
		.amdhsa_ieee_mode 1
		.amdhsa_fp16_overflow 0
		.amdhsa_tg_split 0
		.amdhsa_exception_fp_ieee_invalid_op 0
		.amdhsa_exception_fp_denorm_src 0
		.amdhsa_exception_fp_ieee_div_zero 0
		.amdhsa_exception_fp_ieee_overflow 0
		.amdhsa_exception_fp_ieee_underflow 0
		.amdhsa_exception_fp_ieee_inexact 0
		.amdhsa_exception_int_div_zero 0
	.end_amdhsa_kernel
	.text
.Lfunc_end0:
	.size	bluestein_single_back_len3240_dim1_dp_op_CI_CI, .Lfunc_end0-bluestein_single_back_len3240_dim1_dp_op_CI_CI
                                        ; -- End function
	.section	.AMDGPU.csdata,"",@progbits
; Kernel info:
; codeLenInByte = 43804
; NumSgprs: 44
; NumVgprs: 256
; NumAgprs: 256
; TotalNumVgprs: 512
; ScratchSize: 768
; MemoryBound: 0
; FloatMode: 240
; IeeeMode: 1
; LDSByteSize: 51840 bytes/workgroup (compile time only)
; SGPRBlocks: 5
; VGPRBlocks: 63
; NumSGPRsForWavesPerEU: 44
; NumVGPRsForWavesPerEU: 512
; AccumOffset: 256
; Occupancy: 1
; WaveLimiterHint : 1
; COMPUTE_PGM_RSRC2:SCRATCH_EN: 1
; COMPUTE_PGM_RSRC2:USER_SGPR: 6
; COMPUTE_PGM_RSRC2:TRAP_HANDLER: 0
; COMPUTE_PGM_RSRC2:TGID_X_EN: 1
; COMPUTE_PGM_RSRC2:TGID_Y_EN: 0
; COMPUTE_PGM_RSRC2:TGID_Z_EN: 0
; COMPUTE_PGM_RSRC2:TIDIG_COMP_CNT: 0
; COMPUTE_PGM_RSRC3_GFX90A:ACCUM_OFFSET: 63
; COMPUTE_PGM_RSRC3_GFX90A:TG_SPLIT: 0
	.text
	.p2alignl 6, 3212836864
	.fill 256, 4, 3212836864
	.type	__hip_cuid_c9e9f3bc8f9e27e8,@object ; @__hip_cuid_c9e9f3bc8f9e27e8
	.section	.bss,"aw",@nobits
	.globl	__hip_cuid_c9e9f3bc8f9e27e8
__hip_cuid_c9e9f3bc8f9e27e8:
	.byte	0                               ; 0x0
	.size	__hip_cuid_c9e9f3bc8f9e27e8, 1

	.ident	"AMD clang version 19.0.0git (https://github.com/RadeonOpenCompute/llvm-project roc-6.4.0 25133 c7fe45cf4b819c5991fe208aaa96edf142730f1d)"
	.section	".note.GNU-stack","",@progbits
	.addrsig
	.addrsig_sym __hip_cuid_c9e9f3bc8f9e27e8
	.amdgpu_metadata
---
amdhsa.kernels:
  - .agpr_count:     256
    .args:
      - .actual_access:  read_only
        .address_space:  global
        .offset:         0
        .size:           8
        .value_kind:     global_buffer
      - .actual_access:  read_only
        .address_space:  global
        .offset:         8
        .size:           8
        .value_kind:     global_buffer
      - .actual_access:  read_only
        .address_space:  global
        .offset:         16
        .size:           8
        .value_kind:     global_buffer
      - .actual_access:  read_only
        .address_space:  global
        .offset:         24
        .size:           8
        .value_kind:     global_buffer
      - .actual_access:  read_only
        .address_space:  global
        .offset:         32
        .size:           8
        .value_kind:     global_buffer
      - .offset:         40
        .size:           8
        .value_kind:     by_value
      - .address_space:  global
        .offset:         48
        .size:           8
        .value_kind:     global_buffer
      - .address_space:  global
        .offset:         56
        .size:           8
        .value_kind:     global_buffer
      - .address_space:  global
        .offset:         64
        .size:           8
        .value_kind:     global_buffer
      - .address_space:  global
        .offset:         72
        .size:           8
        .value_kind:     global_buffer
      - .offset:         80
        .size:           4
        .value_kind:     by_value
      - .address_space:  global
        .offset:         88
        .size:           8
        .value_kind:     global_buffer
      - .address_space:  global
        .offset:         96
        .size:           8
        .value_kind:     global_buffer
    .group_segment_fixed_size: 51840
    .kernarg_segment_align: 8
    .kernarg_segment_size: 104
    .language:       OpenCL C
    .language_version:
      - 2
      - 0
    .max_flat_workgroup_size: 108
    .name:           bluestein_single_back_len3240_dim1_dp_op_CI_CI
    .private_segment_fixed_size: 768
    .sgpr_count:     44
    .sgpr_spill_count: 0
    .symbol:         bluestein_single_back_len3240_dim1_dp_op_CI_CI.kd
    .uniform_work_group_size: 1
    .uses_dynamic_stack: false
    .vgpr_count:     512
    .vgpr_spill_count: 191
    .wavefront_size: 64
amdhsa.target:   amdgcn-amd-amdhsa--gfx90a
amdhsa.version:
  - 1
  - 2
...

	.end_amdgpu_metadata
